;; amdgpu-corpus repo=ROCm/rocFFT kind=compiled arch=gfx950 opt=O3
	.text
	.amdgcn_target "amdgcn-amd-amdhsa--gfx950"
	.amdhsa_code_object_version 6
	.protected	fft_rtc_back_len3840_factors_10_6_2_2_2_2_2_2_wgs_128_tpt_128_halfLds_sp_op_CI_CI_sbrr_dirReg ; -- Begin function fft_rtc_back_len3840_factors_10_6_2_2_2_2_2_2_wgs_128_tpt_128_halfLds_sp_op_CI_CI_sbrr_dirReg
	.globl	fft_rtc_back_len3840_factors_10_6_2_2_2_2_2_2_wgs_128_tpt_128_halfLds_sp_op_CI_CI_sbrr_dirReg
	.p2align	8
	.type	fft_rtc_back_len3840_factors_10_6_2_2_2_2_2_2_wgs_128_tpt_128_halfLds_sp_op_CI_CI_sbrr_dirReg,@function
fft_rtc_back_len3840_factors_10_6_2_2_2_2_2_2_wgs_128_tpt_128_halfLds_sp_op_CI_CI_sbrr_dirReg: ; @fft_rtc_back_len3840_factors_10_6_2_2_2_2_2_2_wgs_128_tpt_128_halfLds_sp_op_CI_CI_sbrr_dirReg
; %bb.0:
	s_load_dwordx4 s[12:15], s[0:1], 0x18
	s_load_dwordx4 s[8:11], s[0:1], 0x0
	;; [unrolled: 1-line block ×3, first 2 shown]
	v_mov_b32_e32 v4, s2
	v_mov_b32_e32 v2, 0
	s_waitcnt lgkmcnt(0)
	s_load_dwordx2 s[18:19], s[12:13], 0x0
	s_load_dwordx2 s[16:17], s[14:15], 0x0
	v_cmp_lt_u64_e64 s[2:3], s[10:11], 2
	v_mov_b32_e32 v5, v2
	s_and_b64 vcc, exec, s[2:3]
	v_mov_b64_e32 v[82:83], 0
	s_cbranch_vccnz .LBB0_8
; %bb.1:
	s_load_dwordx2 s[2:3], s[0:1], 0x10
	s_add_u32 s20, s14, 8
	s_addc_u32 s21, s15, 0
	s_add_u32 s22, s12, 8
	s_addc_u32 s23, s13, 0
	s_waitcnt lgkmcnt(0)
	s_add_u32 s24, s2, 8
	v_mov_b64_e32 v[82:83], 0
	s_addc_u32 s25, s3, 0
	s_mov_b64 s[26:27], 1
	v_mov_b64_e32 v[34:35], v[82:83]
.LBB0_2:                                ; =>This Inner Loop Header: Depth=1
	s_load_dwordx2 s[28:29], s[24:25], 0x0
                                        ; implicit-def: $vgpr36_vgpr37
	s_waitcnt lgkmcnt(0)
	v_or_b32_e32 v3, s29, v5
	v_cmp_ne_u64_e32 vcc, 0, v[2:3]
	s_and_saveexec_b64 s[2:3], vcc
	s_xor_b64 s[30:31], exec, s[2:3]
	s_cbranch_execz .LBB0_4
; %bb.3:                                ;   in Loop: Header=BB0_2 Depth=1
	v_cvt_f32_u32_e32 v1, s28
	v_cvt_f32_u32_e32 v3, s29
	s_sub_u32 s2, 0, s28
	s_subb_u32 s3, 0, s29
	v_fmac_f32_e32 v1, 0x4f800000, v3
	v_rcp_f32_e32 v1, v1
	s_nop 0
	v_mul_f32_e32 v1, 0x5f7ffffc, v1
	v_mul_f32_e32 v3, 0x2f800000, v1
	v_trunc_f32_e32 v3, v3
	v_fmac_f32_e32 v1, 0xcf800000, v3
	v_cvt_u32_f32_e32 v3, v3
	v_cvt_u32_f32_e32 v1, v1
	v_mul_lo_u32 v6, s2, v3
	v_mul_hi_u32 v8, s2, v1
	v_mul_lo_u32 v7, s3, v1
	v_add_u32_e32 v8, v8, v6
	v_mul_lo_u32 v10, s2, v1
	v_add_u32_e32 v11, v8, v7
	v_mul_hi_u32 v6, v1, v10
	v_mul_hi_u32 v9, v1, v11
	v_mul_lo_u32 v8, v1, v11
	v_mov_b32_e32 v7, v2
	v_lshl_add_u64 v[6:7], v[6:7], 0, v[8:9]
	v_mul_hi_u32 v9, v3, v10
	v_mul_lo_u32 v10, v3, v10
	v_add_co_u32_e32 v6, vcc, v6, v10
	v_mul_hi_u32 v8, v3, v11
	s_nop 0
	v_addc_co_u32_e32 v6, vcc, v7, v9, vcc
	v_mov_b32_e32 v7, v2
	s_nop 0
	v_addc_co_u32_e32 v9, vcc, 0, v8, vcc
	v_mul_lo_u32 v8, v3, v11
	v_lshl_add_u64 v[6:7], v[6:7], 0, v[8:9]
	v_add_co_u32_e32 v1, vcc, v1, v6
	v_mul_lo_u32 v8, s2, v1
	s_nop 0
	v_addc_co_u32_e32 v3, vcc, v3, v7, vcc
	v_mul_lo_u32 v6, s2, v3
	v_mul_hi_u32 v7, s2, v1
	v_add_u32_e32 v6, v7, v6
	v_mul_lo_u32 v7, s3, v1
	v_add_u32_e32 v10, v6, v7
	v_mul_hi_u32 v12, v3, v8
	v_mul_lo_u32 v13, v3, v8
	v_mul_hi_u32 v7, v1, v10
	v_mul_lo_u32 v6, v1, v10
	v_mul_hi_u32 v8, v1, v8
	v_mov_b32_e32 v9, v2
	v_lshl_add_u64 v[6:7], v[8:9], 0, v[6:7]
	v_add_co_u32_e32 v6, vcc, v6, v13
	v_mul_hi_u32 v11, v3, v10
	s_nop 0
	v_addc_co_u32_e32 v6, vcc, v7, v12, vcc
	v_mul_lo_u32 v8, v3, v10
	s_nop 0
	v_addc_co_u32_e32 v9, vcc, 0, v11, vcc
	v_mov_b32_e32 v7, v2
	v_lshl_add_u64 v[6:7], v[6:7], 0, v[8:9]
	v_add_co_u32_e32 v1, vcc, v1, v6
	v_mul_hi_u32 v8, v4, v1
	s_nop 0
	v_addc_co_u32_e32 v3, vcc, v3, v7, vcc
	v_mad_u64_u32 v[6:7], s[2:3], v4, v3, 0
	v_mov_b32_e32 v9, v2
	v_lshl_add_u64 v[6:7], v[8:9], 0, v[6:7]
	v_mad_u64_u32 v[10:11], s[2:3], v5, v1, 0
	v_add_co_u32_e32 v1, vcc, v6, v10
	v_mad_u64_u32 v[8:9], s[2:3], v5, v3, 0
	s_nop 0
	v_addc_co_u32_e32 v6, vcc, v7, v11, vcc
	v_mov_b32_e32 v7, v2
	s_nop 0
	v_addc_co_u32_e32 v9, vcc, 0, v9, vcc
	v_lshl_add_u64 v[6:7], v[6:7], 0, v[8:9]
	v_mul_lo_u32 v1, s29, v6
	v_mul_lo_u32 v3, s28, v7
	v_mad_u64_u32 v[8:9], s[2:3], s28, v6, 0
	v_add3_u32 v1, v9, v3, v1
	v_sub_u32_e32 v3, v5, v1
	v_mov_b32_e32 v9, s29
	v_sub_co_u32_e32 v12, vcc, v4, v8
	v_lshl_add_u64 v[10:11], v[6:7], 0, 1
	s_nop 0
	v_subb_co_u32_e64 v3, s[2:3], v3, v9, vcc
	v_subrev_co_u32_e64 v8, s[2:3], s28, v12
	v_subb_co_u32_e32 v1, vcc, v5, v1, vcc
	s_nop 0
	v_subbrev_co_u32_e64 v3, s[2:3], 0, v3, s[2:3]
	v_cmp_le_u32_e64 s[2:3], s29, v3
	v_cmp_le_u32_e32 vcc, s29, v1
	s_nop 0
	v_cndmask_b32_e64 v9, 0, -1, s[2:3]
	v_cmp_le_u32_e64 s[2:3], s28, v8
	s_nop 1
	v_cndmask_b32_e64 v8, 0, -1, s[2:3]
	v_cmp_eq_u32_e64 s[2:3], s29, v3
	s_nop 1
	v_cndmask_b32_e64 v3, v9, v8, s[2:3]
	v_lshl_add_u64 v[8:9], v[6:7], 0, 2
	v_cmp_ne_u32_e64 s[2:3], 0, v3
	s_nop 1
	v_cndmask_b32_e64 v3, v11, v9, s[2:3]
	v_cndmask_b32_e64 v9, 0, -1, vcc
	v_cmp_le_u32_e32 vcc, s28, v12
	s_nop 1
	v_cndmask_b32_e64 v11, 0, -1, vcc
	v_cmp_eq_u32_e32 vcc, s29, v1
	s_nop 1
	v_cndmask_b32_e32 v1, v9, v11, vcc
	v_cmp_ne_u32_e32 vcc, 0, v1
	v_cndmask_b32_e64 v1, v10, v8, s[2:3]
	s_nop 0
	v_cndmask_b32_e32 v37, v7, v3, vcc
	v_cndmask_b32_e32 v36, v6, v1, vcc
.LBB0_4:                                ;   in Loop: Header=BB0_2 Depth=1
	s_andn2_saveexec_b64 s[2:3], s[30:31]
	s_cbranch_execz .LBB0_6
; %bb.5:                                ;   in Loop: Header=BB0_2 Depth=1
	v_cvt_f32_u32_e32 v1, s28
	s_sub_i32 s30, 0, s28
	v_mov_b32_e32 v37, v2
	v_rcp_iflag_f32_e32 v1, v1
	s_nop 0
	v_mul_f32_e32 v1, 0x4f7ffffe, v1
	v_cvt_u32_f32_e32 v1, v1
	v_mul_lo_u32 v3, s30, v1
	v_mul_hi_u32 v3, v1, v3
	v_add_u32_e32 v1, v1, v3
	v_mul_hi_u32 v1, v4, v1
	v_mul_lo_u32 v3, v1, s28
	v_sub_u32_e32 v3, v4, v3
	v_add_u32_e32 v6, 1, v1
	v_subrev_u32_e32 v7, s28, v3
	v_cmp_le_u32_e32 vcc, s28, v3
	s_nop 1
	v_cndmask_b32_e32 v3, v3, v7, vcc
	v_cndmask_b32_e32 v1, v1, v6, vcc
	v_add_u32_e32 v6, 1, v1
	v_cmp_le_u32_e32 vcc, s28, v3
	s_nop 1
	v_cndmask_b32_e32 v36, v1, v6, vcc
.LBB0_6:                                ;   in Loop: Header=BB0_2 Depth=1
	s_or_b64 exec, exec, s[2:3]
	v_mad_u64_u32 v[6:7], s[2:3], v36, s28, 0
	s_load_dwordx2 s[2:3], s[22:23], 0x0
	v_mul_lo_u32 v1, v37, s28
	v_mul_lo_u32 v3, v36, s29
	s_load_dwordx2 s[28:29], s[20:21], 0x0
	s_add_u32 s26, s26, 1
	v_add3_u32 v1, v7, v3, v1
	v_sub_co_u32_e32 v3, vcc, v4, v6
	s_addc_u32 s27, s27, 0
	s_nop 0
	v_subb_co_u32_e32 v1, vcc, v5, v1, vcc
	s_add_u32 s20, s20, 8
	s_waitcnt lgkmcnt(0)
	v_mul_lo_u32 v4, s2, v1
	v_mul_lo_u32 v5, s3, v3
	v_mad_u64_u32 v[82:83], s[2:3], s2, v3, v[82:83]
	s_addc_u32 s21, s21, 0
	v_add3_u32 v83, v5, v83, v4
	v_mul_lo_u32 v1, s28, v1
	v_mul_lo_u32 v4, s29, v3
	v_mad_u64_u32 v[34:35], s[2:3], s28, v3, v[34:35]
	s_add_u32 s22, s22, 8
	v_add3_u32 v35, v4, v35, v1
	s_addc_u32 s23, s23, 0
	v_mov_b64_e32 v[4:5], s[10:11]
	s_add_u32 s24, s24, 8
	v_cmp_ge_u64_e32 vcc, s[26:27], v[4:5]
	s_addc_u32 s25, s25, 0
	s_cbranch_vccnz .LBB0_9
; %bb.7:                                ;   in Loop: Header=BB0_2 Depth=1
	v_mov_b64_e32 v[4:5], v[36:37]
	s_branch .LBB0_2
.LBB0_8:
	v_mov_b64_e32 v[34:35], v[82:83]
	v_mov_b64_e32 v[36:37], v[4:5]
.LBB0_9:
	s_load_dwordx2 s[0:1], s[0:1], 0x28
	s_lshl_b64 s[10:11], s[10:11], 3
	s_add_u32 s2, s14, s10
	s_addc_u32 s3, s15, s11
                                        ; implicit-def: $vgpr40_vgpr41
                                        ; implicit-def: $vgpr46_vgpr47
                                        ; implicit-def: $vgpr44_vgpr45
                                        ; implicit-def: $vgpr38_vgpr39
                                        ; implicit-def: $vgpr54_vgpr55
                                        ; implicit-def: $vgpr42
                                        ; implicit-def: $vgpr50
                                        ; implicit-def: $vgpr52
                                        ; implicit-def: $vgpr48
                                        ; implicit-def: $vgpr56_vgpr57
                                        ; implicit-def: $vgpr60_vgpr61
                                        ; implicit-def: $vgpr58_vgpr59
	s_waitcnt lgkmcnt(0)
	v_cmp_gt_u64_e32 vcc, s[0:1], v[36:37]
	v_cmp_le_u64_e64 s[0:1], s[0:1], v[36:37]
	s_and_saveexec_b64 s[14:15], s[0:1]
	s_xor_b64 s[0:1], exec, s[14:15]
	s_cbranch_execz .LBB0_11
; %bb.10:
	v_or_b32_e32 v55, 0x180, v0
	v_or_b32_e32 v54, 0x200, v0
	;; [unrolled: 1-line block ×3, first 2 shown]
	v_mov_b32_e32 v1, 0
	v_or_b32_e32 v42, 0x80, v0
	v_or_b32_e32 v50, 0x100, v0
	;; [unrolled: 1-line block ×11, first 2 shown]
	v_mov_b32_e32 v43, v1
	v_mov_b32_e32 v51, v1
	;; [unrolled: 1-line block ×9, first 2 shown]
                                        ; implicit-def: $vgpr82_vgpr83
.LBB0_11:
	s_or_saveexec_b64 s[0:1], s[0:1]
                                        ; implicit-def: $vgpr78
                                        ; implicit-def: $vgpr72
                                        ; implicit-def: $vgpr92
                                        ; implicit-def: $vgpr22
                                        ; implicit-def: $vgpr90
                                        ; implicit-def: $vgpr14
                                        ; implicit-def: $vgpr12
                                        ; implicit-def: $vgpr62
                                        ; implicit-def: $vgpr2
                                        ; implicit-def: $vgpr80
                                        ; implicit-def: $vgpr116
                                        ; implicit-def: $vgpr88
                                        ; implicit-def: $vgpr20
                                        ; implicit-def: $vgpr32
                                        ; implicit-def: $vgpr8
                                        ; implicit-def: $vgpr108
                                        ; implicit-def: $vgpr104
                                        ; implicit-def: $vgpr106
                                        ; implicit-def: $vgpr74
                                        ; implicit-def: $vgpr24
                                        ; implicit-def: $vgpr26
                                        ; implicit-def: $vgpr68
                                        ; implicit-def: $vgpr66
                                        ; implicit-def: $vgpr64
                                        ; implicit-def: $vgpr18
                                        ; implicit-def: $vgpr70
                                        ; implicit-def: $vgpr28
                                        ; implicit-def: $vgpr76
                                        ; implicit-def: $vgpr6
                                        ; implicit-def: $vgpr114
                                        ; implicit-def: $vgpr10
                                        ; implicit-def: $vgpr30
                                        ; implicit-def: $vgpr86
                                        ; implicit-def: $vgpr84
                                        ; implicit-def: $vgpr4
                                        ; implicit-def: $vgpr16
	s_xor_b64 exec, exec, s[0:1]
	s_cbranch_execz .LBB0_13
; %bb.12:
	s_add_u32 s10, s12, s10
	s_addc_u32 s11, s13, s11
	s_load_dwordx2 s[10:11], s[10:11], 0x0
	v_or_b32_e32 v42, 0x80, v0
	v_or_b32_e32 v55, 0x180, v0
	;; [unrolled: 1-line block ×4, first 2 shown]
	s_waitcnt lgkmcnt(0)
	v_mul_lo_u32 v1, s11, v36
	v_mul_lo_u32 v4, s10, v37
	v_mad_u64_u32 v[2:3], s[10:11], s10, v36, 0
	v_add3_u32 v3, v3, v4, v1
	v_mad_u64_u32 v[4:5], s[10:11], s18, v0, 0
	v_mov_b32_e32 v6, v5
	v_mad_u64_u32 v[6:7], s[10:11], s19, v0, v[6:7]
	v_or_b32_e32 v1, 0x780, v0
	v_mov_b32_e32 v5, v6
	v_lshl_add_u64 v[2:3], v[2:3], 3, s[4:5]
	v_mad_u64_u32 v[6:7], s[4:5], s18, v1, 0
	v_mov_b32_e32 v8, v7
	v_mad_u64_u32 v[8:9], s[4:5], s19, v1, v[8:9]
	v_or_b32_e32 v1, 0x900, v0
	v_mov_b32_e32 v7, v8
	v_mad_u64_u32 v[8:9], s[4:5], s18, v1, 0
	v_mov_b32_e32 v10, v9
	v_mad_u64_u32 v[10:11], s[4:5], s19, v1, v[10:11]
	v_or_b32_e32 v1, 0xa80, v0
	v_mov_b32_e32 v9, v10
	v_mad_u64_u32 v[10:11], s[4:5], s18, v1, 0
	v_mov_b32_e32 v12, v11
	v_mad_u64_u32 v[12:13], s[4:5], s19, v1, v[12:13]
	v_or_b32_e32 v1, 0xc00, v0
	v_mad_u64_u32 v[14:15], s[4:5], s18, v1, 0
	v_mov_b32_e32 v11, v12
	v_mov_b32_e32 v12, v15
	v_mad_u64_u32 v[12:13], s[4:5], s19, v1, v[12:13]
	v_or_b32_e32 v1, 0xd80, v0
	v_mad_u64_u32 v[16:17], s[4:5], s18, v1, 0
	v_mov_b32_e32 v15, v12
	v_mov_b32_e32 v12, v17
	v_mad_u64_u32 v[12:13], s[4:5], s19, v1, v[12:13]
	v_mad_u64_u32 v[18:19], s[4:5], s18, v42, 0
	v_mov_b32_e32 v17, v12
	v_mov_b32_e32 v12, v19
	v_mad_u64_u32 v[12:13], s[4:5], s19, v42, v[12:13]
	;; [unrolled: 4-line block ×4, first 2 shown]
	v_mov_b32_e32 v23, v12
	v_mad_u64_u32 v[12:13], s[4:5], s18, v38, 0
	v_mov_b32_e32 v24, v13
	v_or_b32_e32 v39, 0x380, v0
	v_mad_u64_u32 v[24:25], s[4:5], s19, v38, v[24:25]
	v_mov_b32_e32 v13, v24
	v_mad_u64_u32 v[24:25], s[4:5], s18, v39, 0
	v_mov_b32_e32 v26, v25
	v_mad_u64_u32 v[26:27], s[4:5], s19, v39, v[26:27]
	v_lshl_add_u64 v[2:3], v[82:83], 3, v[2:3]
	v_mov_b32_e32 v25, v26
	v_or_b32_e32 v40, 0x600, v0
	v_lshl_add_u64 v[30:31], v[24:25], 3, v[2:3]
	v_mad_u64_u32 v[24:25], s[4:5], s18, v40, 0
	v_mov_b32_e32 v26, v25
	v_or_b32_e32 v41, 0x680, v0
	v_mad_u64_u32 v[26:27], s[4:5], s19, v40, v[26:27]
	v_mov_b32_e32 v25, v26
	v_mad_u64_u32 v[26:27], s[4:5], s18, v41, 0
	v_mov_b32_e32 v28, v27
	v_mad_u64_u32 v[28:29], s[4:5], s19, v41, v[28:29]
	v_or_b32_e32 v1, 0x800, v0
	v_mov_b32_e32 v27, v28
	v_mad_u64_u32 v[28:29], s[4:5], s18, v1, 0
	v_mov_b32_e32 v32, v29
	v_mad_u64_u32 v[32:33], s[4:5], s19, v1, v[32:33]
	v_or_b32_e32 v1, 0x980, v0
	;; [unrolled: 5-line block ×3, first 2 shown]
	v_mad_u64_u32 v[56:57], s[4:5], s18, v1, 0
	v_mov_b32_e32 v33, v44
	v_mov_b32_e32 v44, v57
	v_mad_u64_u32 v[44:45], s[4:5], s19, v1, v[44:45]
	v_or_b32_e32 v1, 0xc80, v0
	v_mad_u64_u32 v[58:59], s[4:5], s18, v1, 0
	v_mov_b32_e32 v57, v44
	v_mov_b32_e32 v44, v59
	v_mad_u64_u32 v[44:45], s[4:5], s19, v1, v[44:45]
	v_or_b32_e32 v1, 0xe00, v0
	v_mad_u64_u32 v[60:61], s[4:5], s18, v1, 0
	v_mov_b32_e32 v59, v44
	v_mov_b32_e32 v44, v61
	v_or_b32_e32 v50, 0x100, v0
	v_mad_u64_u32 v[44:45], s[4:5], s19, v1, v[44:45]
	v_mad_u64_u32 v[62:63], s[4:5], s18, v50, 0
	v_mov_b32_e32 v61, v44
	v_mov_b32_e32 v44, v63
	v_or_b32_e32 v52, 0x280, v0
	v_mad_u64_u32 v[44:45], s[4:5], s19, v50, v[44:45]
	v_mad_u64_u32 v[64:65], s[4:5], s18, v52, 0
	v_mov_b32_e32 v63, v44
	v_mov_b32_e32 v44, v65
	v_mad_u64_u32 v[44:45], s[4:5], s19, v52, v[44:45]
	v_or_b32_e32 v45, 0x480, v0
	v_mad_u64_u32 v[66:67], s[4:5], s18, v45, 0
	v_mov_b32_e32 v46, v67
	v_mov_b32_e32 v65, v44
	v_or_b32_e32 v44, 0x400, v0
	v_mad_u64_u32 v[46:47], s[4:5], s19, v45, v[46:47]
	v_mov_b32_e32 v67, v46
	v_mad_u64_u32 v[46:47], s[4:5], s18, v44, 0
	v_mov_b32_e32 v48, v47
	;; [unrolled: 2-line block ×3, first 2 shown]
	v_lshl_add_u64 v[72:73], v[46:47], 3, v[2:3]
	v_or_b32_e32 v46, 0x500, v0
	v_mad_u64_u32 v[68:69], s[4:5], s18, v46, 0
	v_or_b32_e32 v47, 0x580, v0
	v_mov_b32_e32 v48, v69
	v_mad_u64_u32 v[48:49], s[4:5], s19, v46, v[48:49]
	v_mad_u64_u32 v[70:71], s[4:5], s18, v47, 0
	v_mov_b32_e32 v69, v48
	v_mov_b32_e32 v48, v71
	v_mad_u64_u32 v[48:49], s[4:5], s19, v47, v[48:49]
	v_mov_b32_e32 v71, v48
	v_or_b32_e32 v48, 0x700, v0
	v_mad_u64_u32 v[74:75], s[4:5], s18, v48, 0
	v_mov_b32_e32 v76, v75
	v_mad_u64_u32 v[76:77], s[4:5], s19, v48, v[76:77]
	v_or_b32_e32 v1, 0x880, v0
	v_mov_b32_e32 v75, v76
	v_mad_u64_u32 v[76:77], s[4:5], s18, v1, 0
	v_mov_b32_e32 v78, v77
	v_mad_u64_u32 v[78:79], s[4:5], s19, v1, v[78:79]
	v_or_b32_e32 v1, 0xa00, v0
	v_mov_b32_e32 v77, v78
	;; [unrolled: 5-line block ×5, first 2 shown]
	v_mad_u64_u32 v[84:85], s[4:5], s18, v1, 0
	v_mov_b32_e32 v86, v85
	v_mad_u64_u32 v[86:87], s[4:5], s19, v1, v[86:87]
	v_mov_b32_e32 v85, v86
	v_lshl_add_u64 v[4:5], v[4:5], 3, v[2:3]
	v_lshl_add_u64 v[86:87], v[6:7], 3, v[2:3]
	;; [unrolled: 1-line block ×28, first 2 shown]
	global_load_dwordx2 v[104:105], v[62:63], off
	global_load_dwordx2 v[116:117], v[106:107], off
	;; [unrolled: 1-line block ×15, first 2 shown]
                                        ; kill: killed $vgpr94_vgpr95
                                        ; kill: killed $vgpr106_vgpr107
                                        ; kill: killed $vgpr30_vgpr31
                                        ; kill: killed $vgpr72_vgpr73
                                        ; kill: killed $vgpr14_vgpr15
                                        ; kill: killed $vgpr8_vgpr9
                                        ; kill: killed $vgpr20_vgpr21
                                        ; kill: killed $vgpr4_vgpr5
                                        ; kill: killed $vgpr16_vgpr17
                                        ; kill: killed $vgpr88_vgpr89
                                        ; kill: killed $vgpr10_vgpr11
                                        ; kill: killed $vgpr86_vgpr87
                                        ; kill: killed $vgpr90_vgpr91
                                        ; kill: killed $vgpr62_vgpr63
                                        ; kill: killed $vgpr32_vgpr33
	global_load_dwordx2 v[10:11], v[58:59], off
	global_load_dwordx2 v[8:9], v[60:61], off
	s_nop 0
	global_load_dwordx2 v[90:91], v[100:101], off
	global_load_dwordx2 v[14:15], v[12:13], off
	;; [unrolled: 1-line block ×13, first 2 shown]
	v_mov_b32_e32 v1, 0
	v_mov_b32_e32 v43, v1
	v_mov_b32_e32 v56, v55
	v_mov_b32_e32 v57, v1
	v_mov_b32_e32 v60, v54
	v_mov_b32_e32 v61, v1
	v_mov_b32_e32 v58, v38
	v_mov_b32_e32 v59, v1
	v_mov_b32_e32 v51, v1
	v_mov_b32_e32 v53, v1
	s_waitcnt vmcnt(27)
	v_mov_b32_e32 v13, v120
	s_waitcnt vmcnt(25)
	v_mov_b32_e32 v74, v79
	;; [unrolled: 2-line block ×5, first 2 shown]
	v_mov_b32_e32 v22, v123
	s_waitcnt vmcnt(14)
	v_mov_b32_e32 v30, v11
	s_waitcnt vmcnt(12)
	;; [unrolled: 2-line block ×3, first 2 shown]
	v_mov_b32_e32 v75, v14
	v_mov_b32_e32 v72, v15
	;; [unrolled: 1-line block ×3, first 2 shown]
	s_waitcnt vmcnt(1)
	v_mov_b32_e32 v16, v5
.LBB0_13:
	s_or_b64 exec, exec, s[0:1]
	s_mov_b32 s0, 0x3f737871
	s_mov_b32 s1, 0x3f167918
	v_mov_b32_e32 v23, v7
	v_mov_b32_e32 v31, v115
	v_add_f32_e32 v5, v21, v10
	v_pk_add_f32 v[82:83], v[6:7], v[114:115]
	s_mov_b32 s12, s1
	s_mov_b32 s13, s0
	v_pk_add_f32 v[152:153], v[22:23], v[30:31] neg_lo:[0,1] neg_hi:[0,1]
	v_mov_b32_e32 v73, v19
	v_mov_b32_e32 v77, v71
	v_add_f32_e32 v146, v92, v21
	v_fma_f32 v142, -0.5, v82, v92
	v_fmac_f32_e32 v92, -0.5, v5
	v_pk_mul_f32 v[94:95], v[152:153], s[12:13]
	v_pk_add_f32 v[122:123], v[72:73], v[76:77] neg_lo:[0,1] neg_hi:[0,1]
	v_mov_b32_e32 v73, v76
	v_mov_b32_e32 v112, v19
	v_mov_b32_e32 v113, v71
	v_add_f32_e32 v5, v95, v92
	v_sub_f32_e32 v11, v92, v95
	v_pk_add_f32 v[92:93], v[72:73], v[112:113] neg_lo:[0,1] neg_hi:[0,1]
	v_sub_f32_e32 v130, v5, v94
	v_add_f32_e32 v131, v94, v11
	v_mov_b32_e32 v94, v93
	v_mov_b32_e32 v95, v70
	v_pk_add_f32 v[132:133], v[92:93], v[94:95]
	v_mov_b32_e32 v5, v18
	v_pk_add_f32 v[92:93], v[24:25], v[68:69]
	v_pk_add_f32 v[118:119], v[66:67], v[26:27] neg_lo:[0,1] neg_hi:[0,1]
	v_pk_add_f32 v[110:111], v[4:5], v[94:95] neg_lo:[0,1] neg_hi:[0,1]
	v_pk_fma_f32 v[92:93], v[92:93], 0.5, v[64:65] op_sel_hi:[1,0,1] neg_lo:[1,0,0] neg_hi:[1,0,0]
	v_pk_mul_f32 v[94:95], v[118:119], s[0:1] op_sel_hi:[1,0]
	s_mov_b32 s10, s1
	v_pk_add_f32 v[120:121], v[68:69], v[24:25] neg_lo:[0,1] neg_hi:[0,1]
	v_pk_add_f32 v[96:97], v[92:93], v[94:95] op_sel:[0,1] op_sel_hi:[1,0] neg_lo:[0,1] neg_hi:[0,1]
	v_pk_add_f32 v[92:93], v[94:95], v[92:93] op_sel:[1,0] op_sel_hi:[0,1]
	v_pk_mul_f32 v[94:95], v[120:121], s[10:11] op_sel_hi:[1,0]
	s_mov_b32 s4, 0x3e9e377a
	v_pk_add_f32 v[126:127], v[96:97], v[94:95] op_sel:[0,1] op_sel_hi:[1,0] neg_lo:[0,1] neg_hi:[0,1]
	v_pk_add_f32 v[92:93], v[94:95], v[92:93] op_sel:[1,0] op_sel_hi:[0,1]
	v_pk_add_f32 v[94:95], v[66:67], v[68:69] neg_lo:[0,1] neg_hi:[0,1]
	v_pk_add_f32 v[96:97], v[26:27], v[24:25] neg_lo:[0,1] neg_hi:[0,1]
	s_mov_b32 s5, s1
	v_pk_add_f32 v[94:95], v[96:97], v[94:95]
	v_mov_b32_e32 v23, v30
	v_pk_mul_f32 v[128:129], v[94:95], s[4:5] op_sel_hi:[1,0]
	v_mov_b32_e32 v97, v114
	v_add_f32_e32 v49, v129, v93
	v_mov_b32_e32 v93, v127
	v_pk_fma_f32 v[102:103], v[94:95], s[4:5], v[92:93] op_sel_hi:[1,0,1]
	v_mov_b32_e32 v92, v6
	v_mov_b32_e32 v93, v114
	;; [unrolled: 1-line block ×4, first 2 shown]
	v_pk_add_f32 v[144:145], v[92:93], v[94:95] neg_lo:[0,1] neg_hi:[0,1]
	v_mov_b32_e32 v94, v7
	v_mov_b32_e32 v95, v115
	v_pk_add_f32 v[92:93], v[22:23], v[94:95] neg_lo:[0,1] neg_hi:[0,1]
	v_mov_b32_e32 v5, v6
	v_mov_b32_e32 v96, v93
	v_pk_add_f32 v[140:141], v[92:93], v[96:97]
	v_pk_add_f32 v[92:93], v[4:5], v[96:97] neg_lo:[0,1] neg_hi:[0,1]
	v_pk_add_f32 v[96:97], v[32:33], v[108:109]
	v_pk_add_f32 v[148:149], v[104:105], v[8:9] neg_lo:[0,1] neg_hi:[0,1]
	v_pk_fma_f32 v[96:97], v[96:97], 0.5, v[106:107] op_sel_hi:[1,0,1] neg_lo:[1,0,0] neg_hi:[1,0,0]
	v_pk_mul_f32 v[98:99], v[148:149], s[0:1] op_sel_hi:[1,0]
	v_pk_add_f32 v[150:151], v[108:109], v[32:33] neg_lo:[0,1] neg_hi:[0,1]
	v_pk_add_f32 v[100:101], v[96:97], v[98:99] op_sel:[0,1] op_sel_hi:[1,0] neg_lo:[0,1] neg_hi:[0,1]
	v_pk_add_f32 v[96:97], v[98:99], v[96:97] op_sel:[1,0] op_sel_hi:[0,1]
	v_pk_mul_f32 v[98:99], v[150:151], s[10:11] op_sel_hi:[1,0]
	v_mov_b32_e32 v15, v87
	v_pk_add_f32 v[124:125], v[100:101], v[98:99] op_sel:[0,1] op_sel_hi:[1,0] neg_lo:[0,1] neg_hi:[0,1]
	v_pk_add_f32 v[96:97], v[98:99], v[96:97] op_sel:[1,0] op_sel_hi:[0,1]
	v_pk_add_f32 v[98:99], v[104:105], v[108:109] neg_lo:[0,1] neg_hi:[0,1]
	v_pk_add_f32 v[100:101], v[8:9], v[32:33] neg_lo:[0,1] neg_hi:[0,1]
	v_mov_b32_e32 v17, v85
	v_pk_add_f32 v[98:99], v[100:101], v[98:99]
	v_pk_add_f32 v[136:137], v[14:15], v[16:17] neg_lo:[0,1] neg_hi:[0,1]
	v_pk_mul_f32 v[158:159], v[98:99], s[4:5] op_sel_hi:[1,0]
	v_mov_b32_e32 v15, v16
	v_add_f32_e32 v31, v159, v97
	v_mov_b32_e32 v97, v125
	v_pk_fma_f32 v[98:99], v[98:99], s[4:5], v[96:97] op_sel_hi:[1,0,1]
	v_mov_b32_e32 v96, v87
	v_mov_b32_e32 v97, v85
	v_pk_add_f32 v[100:101], v[14:15], v[96:97] neg_lo:[0,1] neg_hi:[0,1]
	v_mov_b32_e32 v135, v84
	v_mov_b32_e32 v134, v101
	;; [unrolled: 1-line block ×3, first 2 shown]
	v_pk_add_f32 v[156:157], v[100:101], v[134:135]
	v_pk_add_f32 v[100:101], v[4:5], v[134:135] neg_lo:[0,1] neg_hi:[0,1]
	v_pk_add_f32 v[138:139], v[116:117], v[88:89]
	s_waitcnt vmcnt(0)
	v_pk_add_f32 v[134:135], v[116:117], v[2:3] neg_lo:[0,1] neg_hi:[0,1]
	v_mov_b32_e32 v91, v116
	v_pk_add_f32 v[154:155], v[2:3], v[116:117]
	v_pk_add_f32 v[160:161], v[80:81], v[116:117] neg_lo:[0,1] neg_hi:[0,1]
	v_mov_b32_e32 v116, v3
	v_mov_b32_e32 v162, v63
	;; [unrolled: 1-line block ×3, first 2 shown]
	v_pk_add_f32 v[116:117], v[116:117], v[162:163] neg_lo:[0,1] neg_hi:[0,1]
	v_pk_add_f32 v[164:165], v[80:81], v[62:63] neg_lo:[0,1] neg_hi:[0,1]
	v_mov_b32_e32 v82, v117
	v_pk_add_f32 v[162:163], v[116:117], v[82:83]
	v_pk_add_f32 v[116:117], v[62:63], v[2:3] neg_lo:[0,1] neg_hi:[0,1]
	v_mov_b32_e32 v159, v158
	v_pk_add_f32 v[160:161], v[116:117], v[160:161]
	v_pk_fma_f32 v[116:117], v[154:155], 0.5, v[88:89] op_sel_hi:[1,0,1] neg_lo:[1,0,0] neg_hi:[1,0,0]
	v_pk_mul_f32 v[154:155], v[164:165], s[0:1] op_sel_hi:[1,0]
	v_mov_b32_e32 v158, v109
	v_pk_add_f32 v[166:167], v[116:117], v[154:155] op_sel:[0,1] op_sel_hi:[1,0] neg_lo:[0,1] neg_hi:[0,1]
	v_pk_add_f32 v[116:117], v[154:155], v[116:117] op_sel:[1,0] op_sel_hi:[0,1]
	v_pk_mul_f32 v[154:155], v[134:135], s[10:11] op_sel_hi:[1,0]
	v_mov_b32_e32 v125, v124
	v_pk_add_f32 v[166:167], v[154:155], v[166:167] op_sel:[1,0] op_sel_hi:[0,1]
	v_pk_add_f32 v[154:155], v[116:117], v[154:155] op_sel:[0,1] op_sel_hi:[1,0] neg_lo:[0,1] neg_hi:[0,1]
	v_pk_fma_f32 v[116:117], v[160:161], s[4:5], v[166:167] op_sel_hi:[1,0,1]
	v_pk_fma_f32 v[154:155], v[160:161], s[4:5], v[154:155] op_sel_hi:[1,0,1]
	v_pk_add_f32 v[160:161], v[104:105], v[106:107]
	v_pk_add_f32 v[168:169], v[62:63], v[80:81]
	v_mov_b32_e32 v124, v161
	v_pk_add_f32 v[124:125], v[158:159], v[124:125]
	v_pk_mul_f32 v[158:159], v[152:153], s[0:1]
	v_mov_b32_e32 v161, v88
	v_sub_f32_e32 v5, v142, v158
	v_sub_f32_e32 v11, v5, v159
	v_pk_add_f32 v[152:153], v[10:11], v[114:115] neg_lo:[0,1] neg_hi:[0,1]
	v_fmac_f32_e32 v161, -0.5, v168
	v_mov_b32_e32 v147, v152
	v_pk_add_f32 v[152:153], v[20:21], v[6:7] op_sel_hi:[1,0] neg_lo:[0,1] neg_hi:[0,1]
	v_mov_b32_e32 v143, v108
	v_mov_b32_e32 v152, v6
	v_pk_add_f32 v[166:167], v[146:147], v[152:153]
	v_mov_b32_e32 v153, v165
	v_mov_b32_e32 v152, v135
	v_pk_mul_f32 v[146:147], v[152:153], s[0:1]
	v_mov_b32_e32 v6, v115
	v_sub_f32_e32 v17, v161, v146
	v_mov_b32_e32 v165, v146
	v_mov_b32_e32 v146, 0x3e9e377a
	;; [unrolled: 1-line block ×3, first 2 shown]
	v_pk_add_f32 v[170:171], v[166:167], v[114:115]
	v_pk_mul_f32 v[114:115], v[166:167], v[114:115]
	v_mov_b32_e32 v167, v160
	v_mov_b32_e32 v166, v158
	v_pk_add_f32 v[108:109], v[108:109], v[104:105] neg_lo:[0,1] neg_hi:[0,1]
	v_pk_add_f32 v[104:105], v[8:9], v[104:105]
	v_pk_add_f32 v[142:143], v[142:143], v[166:167]
	v_mov_b32_e32 v158, v159
	v_mov_b32_e32 v159, v32
	v_pk_fma_f32 v[104:105], v[104:105], 0.5, v[106:107] op_sel_hi:[1,0,1] neg_lo:[1,0,0] neg_hi:[1,0,0]
	v_pk_add_f32 v[106:107], v[32:33], v[8:9] neg_lo:[0,1] neg_hi:[0,1]
	v_pk_add_f32 v[142:143], v[158:159], v[142:143]
	v_mov_b32_e32 v171, v115
	v_mov_b32_e32 v114, v115
	;; [unrolled: 1-line block ×3, first 2 shown]
	v_pk_add_f32 v[106:107], v[106:107], v[108:109]
	v_pk_mul_f32 v[108:109], v[150:151], s[0:1] op_sel_hi:[1,0]
	v_pk_add_f32 v[142:143], v[114:115], v[142:143]
	v_pk_add_f32 v[114:115], v[104:105], v[108:109] op_sel:[0,1] op_sel_hi:[1,0] neg_lo:[0,1] neg_hi:[0,1]
	v_pk_add_f32 v[104:105], v[108:109], v[104:105] op_sel:[1,0] op_sel_hi:[0,1]
	v_pk_mul_f32 v[108:109], v[148:149], s[10:11] op_sel_hi:[1,0]
	v_add_f32_e32 v5, v144, v145
	v_pk_add_f32 v[114:115], v[108:109], v[114:115] op_sel:[1,0] op_sel_hi:[0,1]
	v_pk_add_f32 v[104:105], v[104:105], v[108:109] op_sel:[0,1] op_sel_hi:[1,0] neg_lo:[0,1] neg_hi:[0,1]
	v_pk_fma_f32 v[108:109], v[106:107], s[4:5], v[114:115] op_sel_hi:[1,0,1]
	v_pk_fma_f32 v[114:115], v[106:107], s[4:5], v[104:105] op_sel_hi:[1,0,1]
	v_mul_f32_e32 v8, 0x3e9e377a, v5
	s_mov_b32 s14, s0
	s_mov_b32 s15, s4
	v_mov_b32_e32 v163, v164
	v_pk_add_f32 v[144:145], v[8:9], v[130:131] op_sel_hi:[0,1]
	v_mov_b32_e32 v133, v111
	v_mov_b32_e32 v141, v93
	;; [unrolled: 1-line block ×4, first 2 shown]
	v_pk_mul_f32 v[130:131], v[114:115], s[14:15]
	v_mov_b32_e32 v114, v109
	v_pk_mul_f32 v[132:133], v[132:133], s[4:5]
	v_pk_mul_f32 v[106:107], v[140:141], s[4:5]
	;; [unrolled: 1-line block ×4, first 2 shown]
	v_mov_b32_e32 v149, v108
	s_mov_b32 s5, 0xbe9e377a
	v_pk_mul_f32 v[114:115], v[114:115], s[0:1] op_sel_hi:[1,0]
	s_mov_b32 s11, 0x3f4f1bbd
	v_mul_f32_e32 v5, 0x3f167918, v31
	v_pk_fma_f32 v[148:149], v[148:149], s[4:5], v[114:115] neg_lo:[0,0,1] neg_hi:[0,0,1]
	v_pk_add_f32 v[114:115], v[170:171], v[10:11]
	v_fma_f32 v151, v125, s11, -v5
	v_mov_b32_e32 v150, v143
	v_mad_i32_i24 v92, v42, 40, 0
	v_pk_add_f32 v[156:157], v[114:115], v[150:151]
	v_pk_add_f32 v[158:159], v[144:145], v[148:149]
	ds_write2_b64 v92, v[156:157], v[158:159] offset1:1
	v_mov_b32_e32 v156, v115
	v_mov_b32_e32 v157, v144
	v_mov_b32_e32 v150, v151
	v_mov_b32_e32 v151, v148
	s_mov_b32 s18, 0xbf4f1bbd
	s_mov_b32 s19, s1
	v_pk_add_f32 v[150:151], v[156:157], v[150:151] neg_lo:[0,1] neg_hi:[0,1]
	v_pk_mul_f32 v[156:157], v[98:99], s[18:19]
	v_mov_b32_e32 v5, v114
	v_mov_b32_e32 v8, v157
	v_pk_fma_f32 v[156:157], v[98:99], s[18:19], v[8:9] neg_lo:[0,0,1] neg_hi:[0,0,1]
	v_pk_add_f32 v[114:115], v[4:5], v[142:143] neg_lo:[0,1] neg_hi:[0,1]
	v_pk_add_f32 v[158:159], v[156:157], v[142:143]
	v_add_f32_e32 v5, v13, v4
	v_mov_b32_e32 v159, v115
	v_pk_add_f32 v[114:115], v[86:87], v[84:85]
	ds_write2_b64 v92, v[158:159], v[150:151] offset0:2 offset1:3
	v_add_f32_e32 v144, v90, v13
	v_fma_f32 v148, -0.5, v114, v90
	v_fmac_f32_e32 v90, -0.5, v5
	v_pk_mul_f32 v[150:151], v[136:137], s[12:13]
	v_mov_b32_e32 v162, v13
	v_add_f32_e32 v5, v151, v90
	v_sub_f32_e32 v8, v90, v151
	v_sub_f32_e32 v158, v5, v150
	v_add_f32_e32 v159, v150, v8
	v_mov_b32_e32 v150, v86
	v_mov_b32_e32 v151, v84
	;; [unrolled: 1-line block ×3, first 2 shown]
	v_pk_add_f32 v[150:151], v[150:151], v[162:163] neg_lo:[0,1] neg_hi:[0,1]
	v_mov_b32_e32 v90, v2
	v_mov_b32_e32 v162, v62
	;; [unrolled: 1-line block ×3, first 2 shown]
	v_pk_add_f32 v[90:91], v[90:91], v[162:163] neg_lo:[0,1] neg_hi:[0,1]
	v_mov_b32_e32 v11, v89
	v_mov_b32_e32 v164, v90
	;; [unrolled: 1-line block ×3, first 2 shown]
	v_pk_add_f32 v[160:161], v[164:165], v[160:161]
	v_sub_f32_e32 v91, v17, v147
	v_pk_mul_f32 v[88:89], v[146:147], v[160:161]
	v_mov_b32_e32 v90, v139
	v_mov_b32_e32 v89, v88
	;; [unrolled: 1-line block ×3, first 2 shown]
	v_pk_add_f32 v[88:89], v[88:89], v[90:91]
	v_mov_b32_e32 v90, v145
	v_mov_b32_e32 v91, v142
	;; [unrolled: 1-line block ×4, first 2 shown]
	v_pk_add_f32 v[90:91], v[90:91], v[142:143] neg_lo:[0,1] neg_hi:[0,1]
	ds_write_b64 v92, v[90:91] offset:32
	v_pk_mul_f32 v[90:91], v[136:137], s[0:1]
	v_mov_b32_e32 v8, v87
	v_sub_f32_e32 v5, v148, v90
	v_sub_f32_e32 v5, v5, v91
	v_pk_add_f32 v[136:137], v[4:5], v[84:85] neg_lo:[0,1] neg_hi:[0,1]
	v_mov_b32_e32 v32, v85
	v_mov_b32_e32 v145, v136
	v_pk_add_f32 v[136:137], v[12:13], v[86:87] op_sel_hi:[1,0] neg_lo:[0,1] neg_hi:[0,1]
	v_mov_b32_e32 v85, v146
	v_mov_b32_e32 v87, v137
	v_pk_add_f32 v[86:87], v[144:145], v[86:87]
	v_mov_b32_e32 v149, v80
	v_pk_add_f32 v[136:137], v[86:87], v[84:85]
	v_pk_mul_f32 v[84:85], v[86:87], v[84:85]
	v_mov_b32_e32 v81, v138
	v_mov_b32_e32 v80, v90
	v_pk_add_f32 v[80:81], v[148:149], v[80:81]
	v_mov_b32_e32 v86, v91
	v_mov_b32_e32 v87, v62
	;; [unrolled: 1-line block ×5, first 2 shown]
	v_add_f32_e32 v2, v150, v151
	v_fmac_f32_e32 v11, -0.5, v169
	v_pk_add_f32 v[80:81], v[86:87], v[80:81]
	v_mul_f32_e32 v2, 0x3e9e377a, v2
	v_pk_add_f32 v[80:81], v[84:85], v[80:81]
	v_pk_add_f32 v[84:85], v[2:3], v[158:159] op_sel_hi:[0,1]
	v_fmamk_f32 v2, v134, 0x3f737871, v11
	v_add_f32_e32 v2, v141, v2
	v_mov_b32_e32 v86, v154
	v_pk_mul_f32 v[90:91], v[154:155], s[14:15]
	v_mov_b32_e32 v154, v117
	v_add_f32_e32 v17, v140, v2
	v_mov_b32_e32 v87, v116
	v_pk_mul_f32 v[138:139], v[154:155], s[0:1] op_sel_hi:[1,0]
	v_mul_f32_e32 v2, 0x3f167918, v17
	v_pk_fma_f32 v[86:87], v[86:87], s[4:5], v[138:139] neg_lo:[0,0,1] neg_hi:[0,0,1]
	v_pk_add_f32 v[138:139], v[136:137], v[4:5]
	v_fma_f32 v143, v89, s11, -v2
	v_mov_b32_e32 v142, v81
	v_mad_i32_i24 v100, v50, 40, 0
	v_pk_add_f32 v[136:137], v[138:139], v[142:143]
	v_pk_add_f32 v[144:145], v[84:85], v[86:87]
	ds_write2_b64 v100, v[136:137], v[144:145] offset1:1
	v_pk_fma_f32 v[136:137], v[152:153], s[0:1], v[160:161]
	v_fmac_f32_e32 v11, 0xbf737871, v134
	v_mov_b32_e32 v2, v137
	v_pk_fma_f32 v[136:137], v[146:147], v[160:161], v[2:3]
	v_sub_f32_e32 v2, v11, v141
	v_add_f32_e32 v137, v140, v2
	v_mul_f32_e32 v2, 0x3f167918, v137
	v_mov_b32_e32 v134, v143
	v_mov_b32_e32 v135, v86
	;; [unrolled: 1-line block ×5, first 2 shown]
	v_fma_f32 v138, v136, s18, -v2
	v_pk_add_f32 v[134:135], v[140:141], v[134:135] neg_lo:[0,1] neg_hi:[0,1]
	v_pk_add_f32 v[140:141], v[138:139], v[80:81]
	v_pk_add_f32 v[142:143], v[138:139], v[80:81] neg_lo:[0,1] neg_hi:[0,1]
	v_add_f32_e32 v2, v75, v28
	v_mov_b32_e32 v141, v143
	ds_write2_b64 v100, v[140:141], v[134:135] offset0:2 offset1:3
	v_pk_add_f32 v[134:135], v[18:19], v[70:71]
	v_add_f32_e32 v84, v78, v75
	v_fma_f32 v86, -0.5, v134, v78
	v_fmac_f32_e32 v78, -0.5, v2
	v_pk_mul_f32 v[140:141], v[122:123], s[12:13]
	v_mov_b32_e32 v142, v75
	v_add_f32_e32 v2, v141, v78
	v_sub_f32_e32 v5, v78, v141
	v_sub_f32_e32 v78, v2, v140
	v_add_f32_e32 v79, v140, v5
	v_mov_b32_e32 v140, v18
	v_mov_b32_e32 v141, v70
	;; [unrolled: 1-line block ×3, first 2 shown]
	v_pk_add_f32 v[140:141], v[140:141], v[142:143] neg_lo:[0,1] neg_hi:[0,1]
	v_mov_b32_e32 v142, v85
	v_mov_b32_e32 v143, v80
	;; [unrolled: 1-line block ×4, first 2 shown]
	v_pk_add_f32 v[80:81], v[142:143], v[80:81] neg_lo:[0,1] neg_hi:[0,1]
	v_pk_mul_f32 v[122:123], v[122:123], s[0:1]
	ds_write_b64 v100, v[80:81] offset:32
	v_mov_b32_e32 v81, v128
	v_pk_add_f32 v[128:129], v[66:67], v[64:65]
	v_sub_f32_e32 v2, v86, v122
	v_mov_b32_e32 v80, v69
	v_mov_b32_e32 v127, v126
	;; [unrolled: 1-line block ×3, first 2 shown]
	v_sub_f32_e32 v29, v2, v123
	v_pk_add_f32 v[80:81], v[80:81], v[126:127]
	v_pk_add_f32 v[126:127], v[28:29], v[70:71] neg_lo:[0,1] neg_hi:[0,1]
	v_mov_b32_e32 v87, v68
	v_mov_b32_e32 v85, v126
	v_pk_add_f32 v[126:127], v[74:75], v[18:19] op_sel_hi:[1,0] neg_lo:[0,1] neg_hi:[0,1]
	v_pk_add_f32 v[68:69], v[68:69], v[66:67] neg_lo:[0,1] neg_hi:[0,1]
	v_mov_b32_e32 v126, v18
	v_pk_add_f32 v[84:85], v[84:85], v[126:127]
	v_mov_b32_e32 v18, v71
	v_mov_b32_e32 v71, v146
	v_pk_add_f32 v[126:127], v[84:85], v[70:71]
	v_pk_mul_f32 v[70:71], v[84:85], v[70:71]
	v_mov_b32_e32 v85, v128
	v_mov_b32_e32 v84, v122
	v_pk_add_f32 v[66:67], v[26:27], v[66:67]
	v_pk_add_f32 v[84:85], v[86:87], v[84:85]
	v_mov_b32_e32 v86, v123
	v_mov_b32_e32 v87, v24
	v_pk_fma_f32 v[64:65], v[66:67], 0.5, v[64:65] op_sel_hi:[1,0,1] neg_lo:[1,0,0] neg_hi:[1,0,0]
	v_pk_add_f32 v[66:67], v[24:25], v[26:27] neg_lo:[0,1] neg_hi:[0,1]
	v_pk_add_f32 v[84:85], v[86:87], v[84:85]
	v_mov_b32_e32 v127, v71
	v_mov_b32_e32 v70, v71
	;; [unrolled: 1-line block ×3, first 2 shown]
	v_pk_add_f32 v[66:67], v[66:67], v[68:69]
	v_pk_mul_f32 v[68:69], v[120:121], s[0:1] op_sel_hi:[1,0]
	v_pk_add_f32 v[70:71], v[70:71], v[84:85]
	v_pk_add_f32 v[84:85], v[64:65], v[68:69] op_sel:[0,1] op_sel_hi:[1,0] neg_lo:[0,1] neg_hi:[0,1]
	v_pk_add_f32 v[64:65], v[68:69], v[64:65] op_sel:[1,0] op_sel_hi:[0,1]
	v_pk_mul_f32 v[68:69], v[118:119], s[10:11] op_sel_hi:[1,0]
	v_add_f32_e32 v2, v140, v141
	v_pk_add_f32 v[84:85], v[68:69], v[84:85] op_sel:[1,0] op_sel_hi:[0,1]
	v_pk_add_f32 v[64:65], v[64:65], v[68:69] op_sel:[0,1] op_sel_hi:[1,0] neg_lo:[0,1] neg_hi:[0,1]
	v_pk_fma_f32 v[68:69], v[66:67], s[4:5], v[84:85] op_sel_hi:[1,0,1]
	v_pk_fma_f32 v[64:65], v[66:67], s[4:5], v[64:65] op_sel_hi:[1,0,1]
	v_mul_f32_e32 v2, 0x3e9e377a, v2
	v_pk_add_f32 v[66:67], v[2:3], v[78:79] op_sel_hi:[0,1]
	v_mov_b32_e32 v78, v64
	v_pk_mul_f32 v[84:85], v[64:65], s[14:15]
	v_mov_b32_e32 v64, v69
	v_mov_b32_e32 v79, v68
	v_pk_mul_f32 v[64:65], v[64:65], s[0:1] op_sel_hi:[1,0]
	v_mul_f32_e32 v2, 0x3f167918, v49
	v_pk_fma_f32 v[64:65], v[78:79], s[4:5], v[64:65] neg_lo:[0,0,1] neg_hi:[0,0,1]
	v_pk_add_f32 v[78:79], v[126:127], v[28:29]
	v_fma_f32 v87, v81, s11, -v2
	v_mov_b32_e32 v86, v71
	v_mad_u32_u24 v11, v0, 40, 0
	v_pk_add_f32 v[118:119], v[78:79], v[86:87]
	v_pk_add_f32 v[120:121], v[66:67], v[64:65]
	ds_write2_b64 v11, v[118:119], v[120:121] offset1:1
	v_mov_b32_e32 v118, v79
	v_mov_b32_e32 v119, v66
	;; [unrolled: 1-line block ×4, first 2 shown]
	v_pk_add_f32 v[86:87], v[118:119], v[86:87] neg_lo:[0,1] neg_hi:[0,1]
	v_pk_mul_f32 v[118:119], v[102:103], s[18:19]
	v_mov_b32_e32 v5, v78
	v_mov_b32_e32 v2, v119
	v_pk_fma_f32 v[120:121], v[102:103], s[18:19], v[2:3] neg_lo:[0,0,1] neg_hi:[0,0,1]
	v_pk_add_f32 v[78:79], v[4:5], v[70:71] neg_lo:[0,1] neg_hi:[0,1]
	v_pk_add_f32 v[118:119], v[120:121], v[70:71]
	v_mov_b32_e32 v26, v27
	v_mov_b32_e32 v119, v79
	ds_write2_b64 v11, v[118:119], v[86:87] offset0:2 offset1:3
	v_mov_b32_e32 v118, v63
	v_mov_b32_e32 v119, 0x3f167918
	v_pk_add_f32 v[128:129], v[118:119], v[88:89]
	v_mov_b32_e32 v118, v33
	v_pk_add_f32 v[138:139], v[118:119], v[124:125]
	;; [unrolled: 2-line block ×3, first 2 shown]
	v_pk_mul_f32 v[62:63], v[80:81], s[0:1]
	v_mul_f32_e32 v27, 0x3f4f1bbd, v49
	v_mov_b32_e32 v25, v63
	v_add_f32_e32 v5, v72, v76
	v_pk_add_f32 v[24:25], v[26:27], v[24:25]
	v_mul_f32_e32 v2, 0.5, v135
	v_mov_b32_e32 v27, v28
	v_mul_f32_e32 v26, 0.5, v5
	v_pk_add_f32 v[28:29], v[112:113], v[72:73] neg_lo:[0,1] neg_hi:[0,1]
	v_mov_b32_e32 v73, v2
	v_pk_add_f32 v[26:27], v[74:75], v[26:27] neg_lo:[0,1] neg_hi:[0,1]
	v_mov_b32_e32 v66, v67
	v_mov_b32_e32 v67, v70
	;; [unrolled: 1-line block ×4, first 2 shown]
	v_pk_add_f32 v[62:63], v[74:75], v[72:73]
	v_pk_add_f32 v[134:135], v[74:75], v[72:73] op_sel_hi:[0,1] neg_lo:[0,1] neg_hi:[0,1]
	v_pk_mul_f32 v[72:73], v[26:27], s[0:1]
	v_mul_f32_e32 v74, 0x3f737871, v111
	v_mov_b32_e32 v75, v119
	v_pk_add_f32 v[64:65], v[66:67], v[64:65] neg_lo:[0,1] neg_hi:[0,1]
	v_mov_b32_e32 v72, v73
	v_fmamk_f32 v73, v111, 0xbf737871, v26
	v_pk_add_f32 v[78:79], v[26:27], v[74:75]
	ds_write_b64 v11, v[64:65] offset:32
	v_mov_b32_e32 v63, v135
	v_mov_b32_e32 v64, v19
	v_mul_f32_e32 v65, 0x3f737871, v27
	v_pk_fma_f32 v[74:75], v[26:27], v[74:75], v[72:73]
	v_pk_add_f32 v[72:73], v[78:79], v[72:73] neg_lo:[0,1] neg_hi:[0,1]
	v_add_f32_e32 v2, v28, v29
	v_pk_add_f32 v[62:63], v[62:63], v[64:65]
	v_mov_b32_e32 v19, v133
	v_mov_b32_e32 v73, v75
	v_mul_f32_e32 v2, 0x3e9e377a, v2
	v_pk_add_f32 v[18:19], v[62:63], v[18:19]
	v_mov_b32_e32 v77, v132
	v_fmac_f32_e32 v135, 0xbf737871, v27
	v_pk_add_f32 v[28:29], v[2:3], v[72:73] op_sel_hi:[0,1]
	v_pk_fma_f32 v[140:141], v[68:69], s[14:15], v[84:85] op_sel:[0,0,1] op_sel_hi:[1,1,0]
	v_pk_add_f32 v[18:19], v[18:19], v[76:77]
	v_mul_f32_e32 v26, 0xbf4f1bbd, v103
	v_sub_f32_e32 v2, v135, v133
	v_pk_fma_f32 v[142:143], v[68:69], s[14:15], v[84:85] op_sel:[0,0,1] op_sel_hi:[1,1,0] neg_lo:[0,0,1] neg_hi:[0,0,1]
	v_pk_add_f32 v[146:147], v[18:19], v[24:25]
	v_fmac_f32_e32 v26, 0x3f167918, v102
	v_mov_b32_e32 v27, v24
	v_mov_b32_e32 v140, v25
	v_add_f32_e32 v24, v132, v2
	v_mov_b32_e32 v25, v18
	v_mov_b32_e32 v143, v141
	;; [unrolled: 1-line block ×4, first 2 shown]
	v_pk_add_f32 v[102:103], v[24:25], v[26:27]
	v_pk_add_f32 v[132:133], v[24:25], v[26:27] neg_lo:[0,1] neg_hi:[0,1]
	v_pk_add_f32 v[62:63], v[28:29], v[142:143]
	s_movk_i32 s4, 0xffdc
	v_lshl_add_u32 v111, v52, 2, 0
	v_pk_add_f32 v[18:19], v[18:19], v[140:141] neg_lo:[0,1] neg_hi:[0,1]
	v_mov_b32_e32 v103, v133
	v_mov_b32_e32 v29, v24
	;; [unrolled: 1-line block ×5, first 2 shown]
	s_load_dwordx2 s[2:3], s[2:3], 0x0
	s_waitcnt lgkmcnt(0)
	s_barrier
	v_mad_i32_i24 v110, v0, s4, v11
	v_lshl_add_u32 v112, v46, 2, 0
	v_mad_i32_i24 v118, v42, s4, v92
	v_mad_i32_i24 v49, v50, s4, v100
	v_lshl_add_u32 v113, v55, 2, 0
	v_lshl_add_u32 v114, v54, 2, 0
	ds_read_b32 v127, v111
	ds_read_b32 v126, v112
	;; [unrolled: 1-line block ×6, first 2 shown]
	ds_read2st64_b32 v[62:63], v110 offset1:12
	ds_read2st64_b32 v[70:71], v110 offset0:28 offset1:30
	ds_read2st64_b32 v[80:81], v110 offset0:40 offset1:42
	;; [unrolled: 1-line block ×11, first 2 shown]
	s_waitcnt lgkmcnt(0)
	s_barrier
	ds_write2_b64 v11, v[102:103], v[18:19] offset0:2 offset1:3
	v_pk_add_f32 v[18:19], v[28:29], v[142:143] neg_lo:[0,1] neg_hi:[0,1]
	v_add_f32_e32 v5, v22, v30
	ds_write2_b64 v11, v[146:147], v[144:145] offset1:1
	ds_write_b64 v11, v[18:19] offset:32
	v_mul_f32_e32 v2, 0.5, v83
	v_mov_b32_e32 v11, v10
	v_mul_f32_e32 v10, 0.5, v5
	v_pk_add_f32 v[24:25], v[94:95], v[22:23] neg_lo:[0,1] neg_hi:[0,1]
	v_mov_b32_e32 v23, v2
	v_pk_add_f32 v[10:11], v[20:21], v[10:11] neg_lo:[0,1] neg_hi:[0,1]
	v_pk_add_f32 v[26:27], v[20:21], v[22:23]
	v_pk_add_f32 v[22:23], v[20:21], v[22:23] op_sel_hi:[0,1] neg_lo:[0,1] neg_hi:[0,1]
	v_pk_mul_f32 v[20:21], v[10:11], s[0:1]
	v_mul_f32_e32 v28, 0x3f737871, v93
	v_mov_b32_e32 v29, v119
	v_mov_b32_e32 v20, v21
	v_fmamk_f32 v21, v93, 0xbf737871, v10
	v_pk_add_f32 v[82:83], v[10:11], v[28:29]
	v_pk_fma_f32 v[28:29], v[10:11], v[28:29], v[20:21]
	v_pk_add_f32 v[20:21], v[82:83], v[20:21] neg_lo:[0,1] neg_hi:[0,1]
	v_add_f32_e32 v2, v24, v25
	v_mov_b32_e32 v27, v23
	v_mov_b32_e32 v82, v7
	v_mul_f32_e32 v83, 0x3f737871, v11
	v_pk_mul_f32 v[18:19], v[124:125], s[0:1]
	v_mov_b32_e32 v21, v29
	v_mul_f32_e32 v2, 0x3e9e377a, v2
	v_pk_fma_f32 v[24:25], v[108:109], s[14:15], v[130:131] op_sel:[0,0,1] op_sel_hi:[1,1,0]
	v_pk_fma_f32 v[28:29], v[108:109], s[14:15], v[130:131] op_sel:[0,0,1] op_sel_hi:[1,1,0] neg_lo:[0,0,1] neg_hi:[0,0,1]
	v_pk_add_f32 v[26:27], v[26:27], v[82:83]
	v_mov_b32_e32 v7, v107
	v_mov_b32_e32 v139, v19
	;; [unrolled: 1-line block ×3, first 2 shown]
	v_mul_f32_e32 v19, 0x3f4f1bbd, v31
	v_pk_add_f32 v[20:21], v[2:3], v[20:21] op_sel_hi:[0,1]
	v_pk_add_f32 v[6:7], v[26:27], v[6:7]
	v_mov_b32_e32 v31, v106
	v_mov_b32_e32 v29, v25
	v_fmac_f32_e32 v23, 0xbf737871, v11
	v_pk_add_f32 v[18:19], v[18:19], v[138:139]
	v_pk_add_f32 v[6:7], v[6:7], v[30:31]
	v_pk_add_f32 v[26:27], v[20:21], v[28:29]
	v_mul_f32_e32 v10, 0xbf4f1bbd, v99
	v_sub_f32_e32 v2, v23, v107
	v_mov_b32_e32 v30, v27
	v_mov_b32_e32 v31, v26
	v_pk_add_f32 v[26:27], v[6:7], v[18:19]
	v_fmac_f32_e32 v10, 0x3f167918, v98
	v_mov_b32_e32 v11, v18
	v_mov_b32_e32 v24, v19
	v_add_f32_e32 v18, v106, v2
	v_mov_b32_e32 v19, v6
	v_mov_b32_e32 v6, v7
	;; [unrolled: 1-line block ×3, first 2 shown]
	v_pk_add_f32 v[6:7], v[6:7], v[24:25] neg_lo:[0,1] neg_hi:[0,1]
	v_pk_add_f32 v[22:23], v[18:19], v[10:11]
	v_pk_add_f32 v[24:25], v[18:19], v[10:11] neg_lo:[0,1] neg_hi:[0,1]
	v_mov_b32_e32 v5, v4
	v_mov_b32_e32 v23, v25
	ds_write2_b64 v92, v[22:23], v[6:7] offset0:2 offset1:3
	v_pk_mul_f32 v[6:7], v[88:89], s[0:1]
	v_add_f32_e32 v4, v14, v16
	v_mov_b32_e32 v6, v3
	v_mul_f32_e32 v3, 0.5, v115
	v_mul_f32_e32 v4, 0.5, v4
	v_pk_add_f32 v[22:23], v[96:97], v[14:15] neg_lo:[0,1] neg_hi:[0,1]
	v_mov_b32_e32 v15, v3
	v_pk_add_f32 v[4:5], v[12:13], v[4:5] neg_lo:[0,1] neg_hi:[0,1]
	ds_write2_b64 v92, v[26:27], v[30:31] offset1:1
	v_pk_add_f32 v[24:25], v[12:13], v[14:15]
	v_pk_add_f32 v[14:15], v[12:13], v[14:15] op_sel_hi:[0,1] neg_lo:[0,1] neg_hi:[0,1]
	v_mov_b32_e32 v13, v119
	v_mul_f32_e32 v12, 0x3f737871, v101
	v_pk_mul_f32 v[30:31], v[4:5], s[0:1]
	v_fmamk_f32 v27, v101, 0xbf737871, v4
	v_mov_b32_e32 v26, v31
	v_pk_add_f32 v[30:31], v[4:5], v[12:13]
	v_pk_fma_f32 v[12:13], v[4:5], v[12:13], v[26:27]
	v_pk_add_f32 v[26:27], v[30:31], v[26:27] neg_lo:[0,1] neg_hi:[0,1]
	v_add_f32_e32 v3, v22, v23
	v_mov_b32_e32 v27, v13
	v_mul_f32_e32 v4, 0x3e9e377a, v3
	v_mov_b32_e32 v25, v15
	v_mul_f32_e32 v9, 0x3f737871, v5
	v_pk_add_f32 v[12:13], v[4:5], v[26:27] op_sel_hi:[0,1]
	v_pk_fma_f32 v[22:23], v[116:117], s[14:15], v[90:91] op_sel:[0,0,1] op_sel_hi:[1,1,0]
	v_pk_fma_f32 v[26:27], v[116:117], s[14:15], v[90:91] op_sel:[0,0,1] op_sel_hi:[1,1,0] neg_lo:[0,0,1] neg_hi:[0,0,1]
	v_pk_add_f32 v[8:9], v[24:25], v[8:9]
	v_mov_b32_e32 v33, v105
	v_fmac_f32_e32 v15, 0xbf737871, v5
	v_mul_f32_e32 v2, 0xbf4f1bbd, v137
	v_mov_b32_e32 v129, v7
	v_mul_f32_e32 v7, 0x3f4f1bbd, v17
	v_pk_add_f32 v[8:9], v[8:9], v[32:33]
	v_mov_b32_e32 v17, v104
	v_mov_b32_e32 v27, v23
	v_sub_f32_e32 v3, v15, v105
	v_mov_b32_e32 v21, v18
	v_mov_b32_e32 v29, v10
	v_fmac_f32_e32 v2, 0x3f167918, v136
	v_pk_add_f32 v[6:7], v[6:7], v[128:129]
	v_pk_add_f32 v[8:9], v[8:9], v[16:17]
	;; [unrolled: 1-line block ×3, first 2 shown]
	v_add_f32_e32 v14, v104, v3
	v_pk_add_f32 v[10:11], v[20:21], v[28:29] neg_lo:[0,1] neg_hi:[0,1]
	v_pk_add_f32 v[16:17], v[8:9], v[6:7]
	ds_write_b64 v92, v[10:11] offset:32
	v_mov_b32_e32 v10, v5
	v_mov_b32_e32 v11, v4
	;; [unrolled: 1-line block ×8, first 2 shown]
	ds_write2_b64 v100, v[16:17], v[10:11] offset1:1
	v_pk_add_f32 v[4:5], v[14:15], v[2:3]
	v_pk_add_f32 v[10:11], v[14:15], v[2:3] neg_lo:[0,1] neg_hi:[0,1]
	v_pk_add_f32 v[2:3], v[12:13], v[26:27] neg_lo:[0,1] neg_hi:[0,1]
	s_movk_i32 s0, 0xcd
	ds_write_b64 v100, v[2:3] offset:32
	v_mul_lo_u16_sdwa v2, v0, s0 dst_sel:DWORD dst_unused:UNUSED_PAD src0_sel:BYTE_0 src1_sel:DWORD
	v_lshrrev_b16_e32 v93, 11, v2
	v_mul_lo_u16_e32 v2, 10, v93
	v_sub_u16_e32 v94, v0, v2
	v_mov_b32_e32 v18, 5
	v_mov_b32_e32 v22, v7
	v_mul_u32_u24_sdwa v2, v94, v18 dst_sel:DWORD dst_unused:UNUSED_PAD src0_sel:BYTE_0 src1_sel:DWORD
	v_pk_add_f32 v[6:7], v[8:9], v[22:23] neg_lo:[0,1] neg_hi:[0,1]
	v_mov_b32_e32 v5, v11
	v_lshlrev_b32_e32 v82, 3, v2
	ds_write2_b64 v100, v[4:5], v[6:7] offset0:2 offset1:3
	s_waitcnt lgkmcnt(0)
	s_barrier
	global_load_dwordx4 v[2:5], v82, s[8:9]
	s_mov_b32 s1, 0xcccd
	v_mul_u32_u24_sdwa v6, v50, s1 dst_sel:DWORD dst_unused:UNUSED_PAD src0_sel:WORD_0 src1_sel:DWORD
	v_lshrrev_b32_e32 v95, 19, v6
	v_mul_lo_u16_e32 v6, 10, v95
	v_sub_u16_e32 v96, v50, v6
	v_mul_u32_u24_e32 v6, 5, v96
	v_lshlrev_b32_e32 v107, 3, v6
	global_load_dwordx4 v[6:9], v107, s[8:9]
	v_mul_u32_u24_sdwa v10, v55, s1 dst_sel:DWORD dst_unused:UNUSED_PAD src0_sel:WORD_0 src1_sel:DWORD
	v_lshrrev_b32_e32 v98, 19, v10
	v_mul_lo_u16_e32 v10, 10, v98
	v_sub_u16_e32 v97, v55, v10
	v_mul_u32_u24_e32 v10, 5, v97
	v_lshlrev_b32_e32 v108, 3, v10
	global_load_dwordx4 v[10:13], v108, s[8:9]
	global_load_dwordx4 v[14:17], v82, s[8:9] offset:16
	v_mul_lo_u16_sdwa v19, v42, s0 dst_sel:DWORD dst_unused:UNUSED_PAD src0_sel:BYTE_0 src1_sel:DWORD
	v_lshrrev_b16_e32 v105, 11, v19
	v_mul_lo_u16_e32 v19, 10, v105
	v_sub_u16_e32 v106, v42, v19
	v_mul_u32_u24_sdwa v18, v106, v18 dst_sel:DWORD dst_unused:UNUSED_PAD src0_sel:BYTE_0 src1_sel:DWORD
	v_lshlrev_b32_e32 v109, 3, v18
	global_load_dwordx4 v[18:21], v109, s[8:9] offset:16
	global_load_dwordx4 v[22:25], v107, s[8:9] offset:16
	;; [unrolled: 1-line block ×3, first 2 shown]
	v_mul_u32_u24_sdwa v30, v54, s1 dst_sel:DWORD dst_unused:UNUSED_PAD src0_sel:WORD_0 src1_sel:DWORD
	v_lshrrev_b32_e32 v104, 19, v30
	v_mul_lo_u16_e32 v30, 10, v104
	v_sub_u16_e32 v102, v54, v30
	v_mul_u32_u24_e32 v30, 5, v102
	v_lshlrev_b32_e32 v115, 3, v30
	global_load_dwordx4 v[30:33], v115, s[8:9] offset:16
	ds_read2st64_b32 v[90:91], v110 offset0:14 offset1:16
	ds_read2st64_b32 v[88:89], v110 offset0:24 offset1:26
	global_load_dwordx2 v[82:83], v82, s[8:9] offset:32
	ds_read_b32 v116, v111
	ds_read_b32 v117, v112
	;; [unrolled: 1-line block ×6, first 2 shown]
	global_load_dwordx4 v[128:131], v115, s[8:9]
	s_mov_b32 s11, 0x5040100
	s_movk_i32 s5, 0xf0
	s_movk_i32 s0, 0x89
	s_mov_b32 s1, 0x8889
	s_movk_i32 s4, 0x1e0
	s_movk_i32 s10, 0x3c0
	s_waitcnt vmcnt(9) lgkmcnt(5)
	v_mul_f32_e32 v124, v116, v3
	v_mul_f32_e32 v3, v127, v3
	v_fmac_f32_e32 v124, v127, v2
	v_fma_f32 v116, v116, v2, -v3
	s_waitcnt lgkmcnt(4)
	v_mul_f32_e32 v125, v117, v5
	v_mul_f32_e32 v2, v126, v5
	v_fmac_f32_e32 v125, v126, v4
	v_fma_f32 v117, v117, v4, -v2
	global_load_dwordx4 v[2:5], v109, s[8:9]
	s_waitcnt vmcnt(9)
	v_mul_f32_e32 v126, v90, v7
	v_mul_f32_e32 v7, v86, v7
	v_fmac_f32_e32 v126, v86, v6
	v_fma_f32 v90, v90, v6, -v7
	v_mul_f32_e32 v127, v88, v9
	v_mul_f32_e32 v6, v84, v9
	v_fmac_f32_e32 v127, v84, v8
	v_fma_f32 v132, v88, v8, -v6
	global_load_dwordx2 v[6:7], v109, s[8:9] offset:32
	global_load_dwordx2 v[8:9], v107, s[8:9] offset:32
	s_waitcnt vmcnt(10)
	v_mul_f32_e32 v109, v89, v13
	v_mul_f32_e32 v107, v91, v11
	v_fmac_f32_e32 v109, v85, v12
	v_mul_f32_e32 v13, v85, v13
	global_load_dwordx2 v[84:85], v108, s[8:9] offset:32
	v_fmac_f32_e32 v107, v87, v10
	v_mul_f32_e32 v11, v87, v11
	global_load_dwordx2 v[86:87], v115, s[8:9] offset:32
	v_fma_f32 v91, v91, v10, -v11
	ds_read2st64_b32 v[10:11], v110 offset0:28 offset1:30
	v_fma_f32 v108, v89, v12, -v13
	ds_read2st64_b32 v[12:13], v110 offset0:40 offset1:42
	s_waitcnt vmcnt(11) lgkmcnt(1)
	v_mul_f32_e32 v88, v11, v15
	v_mul_f32_e32 v15, v71, v15
	v_fmac_f32_e32 v88, v71, v14
	v_fma_f32 v71, v11, v14, -v15
	ds_read2st64_b32 v[14:15], v110 offset0:32 offset1:34
	s_waitcnt lgkmcnt(1)
	v_mul_f32_e32 v89, v12, v17
	v_mul_f32_e32 v11, v80, v17
	v_fmac_f32_e32 v89, v80, v16
	v_fma_f32 v16, v12, v16, -v11
	s_waitcnt vmcnt(10)
	v_mul_f32_e32 v115, v13, v21
	v_mul_f32_e32 v11, v81, v21
	v_fmac_f32_e32 v115, v81, v20
	v_fma_f32 v20, v13, v20, -v11
	ds_read2st64_b32 v[12:13], v110 offset0:44 offset1:46
	s_waitcnt lgkmcnt(1)
	v_mul_f32_e32 v17, v14, v19
	v_mul_f32_e32 v11, v78, v19
	v_fmac_f32_e32 v17, v78, v18
	v_fma_f32 v18, v14, v18, -v11
	s_waitcnt vmcnt(9)
	v_mul_f32_e32 v11, v79, v23
	v_mul_f32_e32 v19, v15, v23
	v_fma_f32 v21, v15, v22, -v11
	v_mul_f32_e32 v11, v76, v25
	ds_read2st64_b32 v[14:15], v110 offset0:36 offset1:38
	s_waitcnt lgkmcnt(1)
	v_fma_f32 v23, v12, v24, -v11
	s_waitcnt vmcnt(8)
	v_mul_f32_e32 v78, v13, v29
	v_mul_f32_e32 v11, v77, v29
	v_fmac_f32_e32 v19, v79, v22
	v_mul_f32_e32 v22, v12, v25
	v_fmac_f32_e32 v78, v77, v28
	v_fma_f32 v28, v13, v28, -v11
	ds_read2st64_b32 v[12:13], v110 offset0:48 offset1:50
	v_mul_f32_e32 v11, v74, v27
	v_fmac_f32_e32 v22, v76, v24
	s_waitcnt lgkmcnt(1)
	v_mul_f32_e32 v24, v14, v27
	v_fma_f32 v14, v14, v26, -v11
	s_waitcnt vmcnt(7)
	v_mul_f32_e32 v11, v75, v31
	v_mul_f32_e32 v25, v15, v31
	v_fma_f32 v15, v15, v30, -v11
	v_mul_f32_e32 v11, v72, v33
	s_waitcnt lgkmcnt(0)
	v_fma_f32 v29, v12, v32, -v11
	s_waitcnt vmcnt(6)
	v_mul_f32_e32 v11, v73, v83
	v_fmac_f32_e32 v24, v74, v26
	v_fmac_f32_e32 v25, v75, v30
	v_mul_f32_e32 v27, v12, v33
	v_mul_f32_e32 v26, v13, v83
	v_fma_f32 v30, v13, v82, -v11
	ds_read2st64_b32 v[12:13], v110 offset0:18 offset1:22
	v_fmac_f32_e32 v27, v72, v32
	s_waitcnt vmcnt(5)
	v_mul_f32_e32 v32, v10, v131
	v_mul_f32_e32 v11, v70, v131
	v_fmac_f32_e32 v32, v70, v130
	v_fma_f32 v33, v10, v130, -v11
	s_waitcnt lgkmcnt(0)
	v_mul_f32_e32 v70, v12, v129
	v_mul_f32_e32 v10, v68, v129
	v_fmac_f32_e32 v70, v68, v128
	v_fma_f32 v68, v12, v128, -v10
	s_waitcnt vmcnt(4)
	v_mul_f32_e32 v79, v13, v5
	ds_read2st64_b32 v[10:11], v110 offset1:12
	v_mul_f32_e32 v5, v69, v5
	v_fmac_f32_e32 v79, v69, v4
	v_fma_f32 v69, v13, v4, -v5
	ds_read2st64_b32 v[4:5], v110 offset0:52 offset1:54
	s_waitcnt lgkmcnt(1)
	v_mul_f32_e32 v128, v11, v3
	v_mul_f32_e32 v3, v63, v3
	v_fmac_f32_e32 v128, v63, v2
	v_fma_f32 v63, v11, v2, -v3
	s_waitcnt vmcnt(3) lgkmcnt(0)
	v_mul_f32_e32 v11, v4, v7
	v_mul_f32_e32 v2, v66, v7
	v_fmac_f32_e32 v11, v66, v6
	v_fma_f32 v66, v4, v6, -v2
	ds_read2st64_b32 v[2:3], v110 offset0:56 offset1:58
	s_waitcnt vmcnt(2)
	v_mul_f32_e32 v6, v67, v9
	v_mul_f32_e32 v4, v5, v9
	v_fma_f32 v129, v5, v8, -v6
	s_waitcnt vmcnt(1)
	v_mul_f32_e32 v6, v64, v85
	s_waitcnt lgkmcnt(0)
	v_mul_f32_e32 v5, v2, v85
	v_fmac_f32_e32 v5, v64, v84
	v_fma_f32 v64, v2, v84, -v6
	s_waitcnt vmcnt(0)
	v_mul_f32_e32 v6, v65, v87
	v_fmac_f32_e32 v26, v73, v82
	v_fma_f32 v130, v3, v86, -v6
	v_add_f32_e32 v6, v125, v89
	v_fmac_f32_e32 v4, v67, v8
	v_mul_f32_e32 v2, v3, v87
	v_add_f32_e32 v3, v62, v125
	v_fmac_f32_e32 v62, -0.5, v6
	v_sub_f32_e32 v6, v117, v16
	v_add_f32_e32 v8, v88, v26
	v_fmamk_f32 v7, v6, 0xbf5db3d7, v62
	v_fmac_f32_e32 v62, 0x3f5db3d7, v6
	v_add_f32_e32 v6, v124, v88
	v_fmac_f32_e32 v124, -0.5, v8
	v_sub_f32_e32 v8, v71, v30
	v_add_f32_e32 v12, v71, v30
	v_fmamk_f32 v9, v8, 0xbf5db3d7, v124
	v_fmac_f32_e32 v124, 0x3f5db3d7, v8
	v_add_f32_e32 v8, v116, v71
	v_fmac_f32_e32 v116, -0.5, v12
	v_sub_f32_e32 v12, v88, v26
	v_fmamk_f32 v13, v12, 0x3f5db3d7, v116
	v_fmac_f32_e32 v116, 0xbf5db3d7, v12
	v_mul_f32_e32 v12, 0xbf5db3d7, v116
	v_fmac_f32_e32 v2, v65, v86
	v_fmac_f32_e32 v12, -0.5, v124
	v_add_f32_e32 v65, v117, v16
	v_add_f32_e32 v31, v62, v12
	v_sub_f32_e32 v12, v62, v12
	v_add_f32_e32 v62, v10, v117
	v_fmac_f32_e32 v10, -0.5, v65
	v_sub_f32_e32 v65, v125, v89
	v_fmamk_f32 v117, v65, 0x3f5db3d7, v10
	v_fmac_f32_e32 v10, 0xbf5db3d7, v65
	v_mul_f32_e32 v65, -0.5, v116
	v_fmac_f32_e32 v65, 0x3f5db3d7, v124
	v_add_f32_e32 v6, v6, v26
	v_mov_b32_e32 v26, 2
	v_add_f32_e32 v116, v10, v65
	v_sub_f32_e32 v124, v10, v65
	v_mul_u32_u24_e32 v10, 0xf0, v93
	v_lshlrev_b32_sdwa v65, v26, v94 dst_sel:DWORD dst_unused:UNUSED_PAD src0_sel:DWORD src1_sel:BYTE_0
	v_add_f32_e32 v3, v3, v89
	v_add3_u32 v93, 0, v10, v65
	v_mul_f32_e32 v10, 0xbf5db3d7, v13
	v_fmac_f32_e32 v10, 0.5, v9
	v_add_f32_e32 v65, v3, v6
	v_sub_f32_e32 v3, v3, v6
	s_barrier
	v_add_f32_e32 v67, v7, v10
	ds_write2_b32 v93, v31, v3 offset0:20 offset1:30
	v_sub_f32_e32 v3, v7, v10
	v_add_f32_e32 v6, v79, v115
	v_add_f32_e32 v7, v17, v11
	ds_write2_b32 v93, v3, v12 offset0:40 offset1:50
	v_add_f32_e32 v3, v123, v79
	v_fmac_f32_e32 v123, -0.5, v6
	v_add_f32_e32 v6, v128, v17
	v_fmac_f32_e32 v128, -0.5, v7
	v_add_f32_e32 v7, v18, v66
	v_add_f32_e32 v94, v63, v18
	v_fmac_f32_e32 v63, -0.5, v7
	v_add_f32_e32 v6, v6, v11
	v_sub_f32_e32 v7, v17, v11
	v_mul_u32_u24_e32 v10, 0xf0, v105
	v_lshlrev_b32_sdwa v11, v26, v106 dst_sel:DWORD dst_unused:UNUSED_PAD src0_sel:DWORD src1_sel:BYTE_0
	v_add3_u32 v105, 0, v10, v11
	v_add_f32_e32 v3, v3, v115
	v_sub_f32_e32 v10, v18, v66
	v_fmamk_f32 v106, v7, 0x3f5db3d7, v63
	v_fmac_f32_e32 v63, 0xbf5db3d7, v7
	v_fmamk_f32 v18, v10, 0xbf5db3d7, v128
	v_sub_f32_e32 v12, v69, v20
	v_add_f32_e32 v31, v3, v6
	v_fmac_f32_e32 v128, 0x3f5db3d7, v10
	v_sub_f32_e32 v3, v3, v6
	v_mul_f32_e32 v6, 0xbf5db3d7, v63
	v_mul_f32_e32 v11, 0xbf5db3d7, v106
	v_fmamk_f32 v17, v12, 0xbf5db3d7, v123
	v_fmac_f32_e32 v123, 0x3f5db3d7, v12
	v_fmac_f32_e32 v6, -0.5, v128
	v_fmac_f32_e32 v11, 0.5, v18
	v_add_f32_e32 v7, v123, v6
	ds_write2_b32 v93, v65, v67 offset1:10
	ds_write2_b32 v105, v7, v3 offset0:20 offset1:30
	v_sub_f32_e32 v3, v17, v11
	v_sub_f32_e32 v6, v123, v6
	ds_write2_b32 v105, v3, v6 offset0:40 offset1:50
	v_add_f32_e32 v6, v127, v22
	v_add_f32_e32 v7, v19, v4
	;; [unrolled: 1-line block ×3, first 2 shown]
	v_fmac_f32_e32 v122, -0.5, v6
	v_add_f32_e32 v6, v126, v19
	v_fmac_f32_e32 v126, -0.5, v7
	v_add_f32_e32 v7, v21, v129
	v_add_f32_e32 v123, v90, v21
	v_fmac_f32_e32 v90, -0.5, v7
	v_add_f32_e32 v6, v6, v4
	v_sub_f32_e32 v4, v19, v4
	v_mul_u32_u24_e32 v7, 0xf0, v95
	v_lshlrev_b32_e32 v10, 2, v96
	v_add3_u32 v19, 0, v7, v10
	v_sub_f32_e32 v7, v21, v129
	v_fmamk_f32 v95, v4, 0x3f5db3d7, v90
	v_fmac_f32_e32 v90, 0xbf5db3d7, v4
	v_add_f32_e32 v65, v17, v11
	v_fmamk_f32 v21, v7, 0xbf5db3d7, v126
	v_sub_f32_e32 v11, v132, v23
	v_fmac_f32_e32 v126, 0x3f5db3d7, v7
	v_mul_f32_e32 v4, 0xbf5db3d7, v90
	v_add_f32_e32 v3, v3, v22
	v_mul_f32_e32 v10, 0xbf5db3d7, v95
	v_fmamk_f32 v12, v11, 0xbf5db3d7, v122
	v_fmac_f32_e32 v122, 0x3f5db3d7, v11
	v_fmac_f32_e32 v4, -0.5, v126
	v_fmac_f32_e32 v10, 0.5, v21
	v_add_f32_e32 v17, v3, v6
	v_sub_f32_e32 v3, v3, v6
	v_add_f32_e32 v6, v122, v4
	ds_write2_b32 v105, v31, v65 offset1:10
	ds_write2_b32 v19, v6, v3 offset0:20 offset1:30
	v_sub_f32_e32 v3, v12, v10
	v_sub_f32_e32 v4, v122, v4
	ds_write2_b32 v19, v3, v4 offset0:40 offset1:50
	v_add_f32_e32 v4, v109, v78
	v_add_f32_e32 v6, v24, v5
	;; [unrolled: 1-line block ×3, first 2 shown]
	v_fmac_f32_e32 v121, -0.5, v4
	v_add_f32_e32 v4, v107, v24
	v_fmac_f32_e32 v107, -0.5, v6
	v_add_f32_e32 v6, v14, v64
	v_add_f32_e32 v96, v91, v14
	v_fmac_f32_e32 v91, -0.5, v6
	v_perm_b32 v6, v98, v104, s11
	v_pk_mul_lo_u16 v6, v6, s5 op_sel_hi:[1,0]
	v_add_f32_e32 v31, v12, v10
	v_add_f32_e32 v4, v4, v5
	v_sub_f32_e32 v5, v24, v5
	v_lshlrev_b32_e32 v7, 2, v97
	v_lshrrev_b32_e32 v10, 16, v6
	v_add3_u32 v97, 0, v10, v7
	v_add_f32_e32 v3, v3, v78
	v_sub_f32_e32 v7, v14, v64
	v_fmamk_f32 v104, v5, 0x3f5db3d7, v91
	v_fmac_f32_e32 v91, 0xbf5db3d7, v5
	v_fmamk_f32 v98, v7, 0xbf5db3d7, v107
	v_sub_f32_e32 v11, v108, v28
	v_add_f32_e32 v14, v3, v4
	v_fmac_f32_e32 v107, 0x3f5db3d7, v7
	v_sub_f32_e32 v3, v3, v4
	v_mul_f32_e32 v4, 0xbf5db3d7, v91
	v_mul_f32_e32 v10, 0xbf5db3d7, v104
	v_fmamk_f32 v12, v11, 0xbf5db3d7, v121
	v_fmac_f32_e32 v121, 0x3f5db3d7, v11
	v_fmac_f32_e32 v4, -0.5, v107
	v_fmac_f32_e32 v10, 0.5, v98
	v_add_f32_e32 v5, v121, v4
	ds_write2_b32 v19, v17, v31 offset1:10
	ds_write2_b32 v97, v5, v3 offset0:20 offset1:30
	v_sub_f32_e32 v3, v12, v10
	v_sub_f32_e32 v4, v121, v4
	ds_write2_b32 v97, v3, v4 offset0:40 offset1:50
	v_add_f32_e32 v4, v32, v27
	v_add_f32_e32 v5, v25, v2
	;; [unrolled: 1-line block ×3, first 2 shown]
	v_fmac_f32_e32 v120, -0.5, v4
	v_add_f32_e32 v4, v70, v25
	v_fmac_f32_e32 v70, -0.5, v5
	v_add_f32_e32 v5, v15, v130
	v_add_f32_e32 v121, v68, v15
	v_fmac_f32_e32 v68, -0.5, v5
	v_add_f32_e32 v4, v4, v2
	v_sub_f32_e32 v2, v25, v2
	v_and_b32_e32 v5, 0xfff0, v6
	v_lshlrev_b32_e32 v6, 2, v102
	v_add3_u32 v102, 0, v5, v6
	v_add_f32_e32 v3, v3, v27
	v_sub_f32_e32 v5, v15, v130
	v_fmamk_f32 v125, v2, 0x3f5db3d7, v68
	v_fmac_f32_e32 v68, 0xbf5db3d7, v2
	v_fmamk_f32 v122, v5, 0xbf5db3d7, v70
	v_sub_f32_e32 v7, v33, v29
	v_add_f32_e32 v11, v3, v4
	v_fmac_f32_e32 v70, 0x3f5db3d7, v5
	v_sub_f32_e32 v2, v3, v4
	v_mul_f32_e32 v3, 0xbf5db3d7, v68
	v_add_f32_e32 v17, v12, v10
	v_mul_f32_e32 v6, 0xbf5db3d7, v125
	v_fmamk_f32 v10, v7, 0xbf5db3d7, v120
	v_fmac_f32_e32 v120, 0x3f5db3d7, v7
	v_fmac_f32_e32 v3, -0.5, v70
	v_fmac_f32_e32 v6, 0.5, v122
	v_add_f32_e32 v4, v120, v3
	v_sub_f32_e32 v3, v120, v3
	v_add_f32_e32 v62, v62, v16
	v_add_f32_e32 v30, v8, v30
	v_mul_f32_e32 v120, 0.5, v13
	ds_write2_b32 v97, v14, v17 offset1:10
	v_add_f32_e32 v12, v10, v6
	ds_write2_b32 v102, v4, v2 offset0:20 offset1:30
	v_sub_f32_e32 v2, v10, v6
	v_fmac_f32_e32 v120, 0x3f5db3d7, v9
	v_lshl_add_u32 v65, v38, 2, 0
	v_lshl_add_u32 v73, v47, 2, 0
	v_add_f32_e32 v131, v62, v30
	v_sub_f32_e32 v30, v62, v30
	ds_write2_b32 v102, v11, v12 offset1:10
	ds_write2_b32 v102, v2, v3 offset0:40 offset1:50
	s_waitcnt lgkmcnt(0)
	s_barrier
	ds_read_b32 v84, v111
	v_lshl_add_u32 v67, v39, 2, 0
	v_lshl_add_u32 v71, v44, 2, 0
	;; [unrolled: 1-line block ×3, first 2 shown]
	ds_read_b32 v85, v65
	ds_read_b32 v83, v67
	;; [unrolled: 1-line block ×7, first 2 shown]
	v_lshl_add_u32 v74, v40, 2, 0
	v_lshl_add_u32 v75, v41, 2, 0
	ds_read_b32 v77, v73
	ds_read_b32 v72, v74
	;; [unrolled: 1-line block ×3, first 2 shown]
	v_lshl_add_u32 v82, v48, 2, 0
	ds_read_b32 v88, v49
	ds_read_b32 v89, v118
	;; [unrolled: 1-line block ×3, first 2 shown]
	ds_read2st64_b32 v[2:3], v110 offset1:30
	ds_read2st64_b32 v[16:17], v110 offset0:32 offset1:34
	ds_read2st64_b32 v[14:15], v110 offset0:36 offset1:38
	;; [unrolled: 1-line block ×7, first 2 shown]
	s_waitcnt lgkmcnt(0)
	s_barrier
	ds_write2_b32 v93, v116, v30 offset0:20 offset1:30
	v_sub_f32_e32 v30, v117, v120
	ds_write2_b32 v93, v30, v124 offset0:40 offset1:50
	v_add_f32_e32 v30, v119, v69
	v_add_f32_e32 v30, v30, v20
	;; [unrolled: 1-line block ×3, first 2 shown]
	v_fmac_f32_e32 v119, -0.5, v20
	v_sub_f32_e32 v20, v79, v115
	v_add_f32_e32 v62, v94, v66
	v_mul_f32_e32 v66, 0.5, v106
	v_fmac_f32_e32 v66, 0x3f5db3d7, v18
	v_fmamk_f32 v18, v20, 0x3f5db3d7, v119
	v_fmac_f32_e32 v119, 0xbf5db3d7, v20
	v_mul_f32_e32 v20, -0.5, v63
	v_fmac_f32_e32 v20, 0x3f5db3d7, v128
	v_add_f32_e32 v133, v117, v120
	v_add_f32_e32 v69, v30, v62
	;; [unrolled: 1-line block ×3, first 2 shown]
	v_sub_f32_e32 v30, v30, v62
	v_add_f32_e32 v62, v119, v20
	v_sub_f32_e32 v18, v18, v66
	v_sub_f32_e32 v20, v119, v20
	ds_write2_b32 v93, v131, v133 offset1:10
	ds_write2_b32 v105, v18, v20 offset0:40 offset1:50
	v_add_f32_e32 v18, v103, v132
	v_add_f32_e32 v20, v132, v23
	;; [unrolled: 1-line block ×3, first 2 shown]
	v_fmac_f32_e32 v103, -0.5, v20
	v_sub_f32_e32 v20, v127, v22
	v_mul_f32_e32 v23, 0.5, v95
	v_fmac_f32_e32 v23, 0x3f5db3d7, v21
	v_fmamk_f32 v21, v20, 0x3f5db3d7, v103
	v_fmac_f32_e32 v103, 0xbf5db3d7, v20
	v_mul_f32_e32 v20, -0.5, v90
	v_add_f32_e32 v22, v123, v129
	v_fmac_f32_e32 v20, 0x3f5db3d7, v126
	ds_write2_b32 v105, v62, v30 offset0:20 offset1:30
	v_add_f32_e32 v30, v18, v22
	v_sub_f32_e32 v18, v18, v22
	v_add_f32_e32 v22, v103, v20
	v_add_f32_e32 v63, v99, v33
	ds_write2_b32 v105, v69, v79 offset1:10
	v_add_f32_e32 v62, v21, v23
	ds_write2_b32 v19, v22, v18 offset0:20 offset1:30
	v_sub_f32_e32 v18, v21, v23
	v_add_f32_e32 v21, v101, v108
	v_add_f32_e32 v22, v108, v28
	v_add_f32_e32 v63, v63, v29
	v_add_f32_e32 v29, v33, v29
	ds_write2_b32 v19, v30, v62 offset1:10
	v_add_f32_e32 v21, v21, v28
	v_fmac_f32_e32 v101, -0.5, v22
	v_sub_f32_e32 v22, v109, v78
	v_mul_f32_e32 v28, 0.5, v104
	v_mul_f32_e32 v30, -0.5, v91
	v_fmac_f32_e32 v99, -0.5, v29
	v_sub_f32_e32 v27, v32, v27
	v_mul_f32_e32 v32, 0.5, v125
	v_mul_f32_e32 v33, -0.5, v68
	v_mul_lo_u16_sdwa v78, v42, s0 dst_sel:DWORD dst_unused:UNUSED_PAD src0_sel:BYTE_0 src1_sel:DWORD
	v_mul_u32_u24_sdwa v79, v50, s1 dst_sel:DWORD dst_unused:UNUSED_PAD src0_sel:WORD_0 src1_sel:DWORD
	v_sub_f32_e32 v20, v103, v20
	v_fmamk_f32 v23, v22, 0x3f5db3d7, v101
	v_fmac_f32_e32 v101, 0xbf5db3d7, v22
	v_add_f32_e32 v22, v96, v64
	v_fmac_f32_e32 v28, 0x3f5db3d7, v98
	v_fmac_f32_e32 v30, 0x3f5db3d7, v107
	v_fmamk_f32 v29, v27, 0x3f5db3d7, v99
	v_fmac_f32_e32 v99, 0xbf5db3d7, v27
	v_add_f32_e32 v27, v121, v130
	v_fmac_f32_e32 v32, 0x3f5db3d7, v122
	v_fmac_f32_e32 v33, 0x3f5db3d7, v70
	v_lshrrev_b16_e32 v93, 13, v78
	v_lshrrev_b32_e32 v115, 21, v79
	v_mul_u32_u24_sdwa v69, v55, s1 dst_sel:DWORD dst_unused:UNUSED_PAD src0_sel:WORD_0 src1_sel:DWORD
	v_add_f32_e32 v62, v21, v22
	v_sub_f32_e32 v21, v21, v22
	v_add_f32_e32 v22, v23, v28
	v_sub_f32_e32 v23, v23, v28
	;; [unrolled: 2-line block ×6, first 2 shown]
	ds_write2_b32 v19, v18, v20 offset0:40 offset1:50
	ds_write2_b32 v97, v62, v22 offset1:10
	ds_write2_b32 v97, v28, v21 offset0:20 offset1:30
	ds_write2_b32 v97, v23, v30 offset0:40 offset1:50
	ds_write2_b32 v102, v64, v63 offset1:10
	ds_write2_b32 v102, v32, v27 offset0:20 offset1:30
	ds_write2_b32 v102, v29, v33 offset0:40 offset1:50
	v_mul_lo_u16_e32 v18, 60, v93
	v_mul_lo_u16_e32 v19, 60, v115
	v_lshrrev_b32_e32 v128, 21, v69
	v_mov_b32_e32 v70, 3
	v_sub_u16_e32 v101, v42, v18
	v_sub_u16_e32 v119, v50, v19
	v_mul_lo_u16_e32 v19, 60, v128
	v_mul_u32_u24_sdwa v66, v54, s1 dst_sel:DWORD dst_unused:UNUSED_PAD src0_sel:WORD_0 src1_sel:DWORD
	v_lshlrev_b32_sdwa v18, v70, v101 dst_sel:DWORD dst_unused:UNUSED_PAD src0_sel:DWORD src1_sel:BYTE_0
	v_lshlrev_b32_e32 v27, 3, v119
	v_sub_u16_e32 v129, v55, v19
	v_lshrrev_b32_e32 v130, 21, v66
	v_mul_u32_u24_sdwa v68, v52, s1 dst_sel:DWORD dst_unused:UNUSED_PAD src0_sel:WORD_0 src1_sel:DWORD
	s_waitcnt lgkmcnt(0)
	s_barrier
	v_lshlrev_b32_e32 v28, 3, v129
	global_load_dwordx2 v[22:23], v18, s[8:9] offset:400
	global_load_dwordx2 v[20:21], v27, s[8:9] offset:400
	s_nop 0
	global_load_dwordx2 v[18:19], v28, s[8:9] offset:400
	v_mul_lo_u16_e32 v27, 60, v130
	v_lshrrev_b32_e32 v132, 21, v68
	v_sub_u16_e32 v131, v54, v27
	v_mul_lo_u16_e32 v27, 60, v132
	v_sub_u16_e32 v133, v52, v27
	v_mul_u32_u24_sdwa v27, v38, s1 dst_sel:DWORD dst_unused:UNUSED_PAD src0_sel:WORD_0 src1_sel:DWORD
	v_lshrrev_b32_e32 v134, 21, v27
	v_mul_lo_u16_e32 v28, 60, v134
	v_sub_u16_e32 v135, v38, v28
	v_mul_u32_u24_sdwa v28, v39, s1 dst_sel:DWORD dst_unused:UNUSED_PAD src0_sel:WORD_0 src1_sel:DWORD
	v_lshrrev_b32_e32 v136, 21, v28
	v_mul_lo_u16_e32 v33, 60, v136
	v_lshlrev_b32_e32 v29, 3, v131
	v_lshlrev_b32_e32 v32, 3, v135
	v_sub_u16_e32 v137, v39, v33
	v_lshlrev_b32_e32 v30, 3, v133
	v_lshlrev_b32_e32 v33, 3, v137
	global_load_dwordx2 v[90:91], v29, s[8:9] offset:400
	global_load_dwordx2 v[94:95], v30, s[8:9] offset:400
	;; [unrolled: 1-line block ×4, first 2 shown]
	v_mul_u32_u24_sdwa v32, v44, s1 dst_sel:DWORD dst_unused:UNUSED_PAD src0_sel:WORD_0 src1_sel:DWORD
	v_lshrrev_b32_e32 v138, 21, v32
	v_mul_u32_u24_sdwa v63, v45, s1 dst_sel:DWORD dst_unused:UNUSED_PAD src0_sel:WORD_0 src1_sel:DWORD
	v_mul_lo_u16_e32 v29, 60, v138
	v_lshrrev_b32_e32 v140, 21, v63
	v_mul_u32_u24_sdwa v64, v46, s1 dst_sel:DWORD dst_unused:UNUSED_PAD src0_sel:WORD_0 src1_sel:DWORD
	v_sub_u16_e32 v139, v44, v29
	v_mul_lo_u16_e32 v29, 60, v140
	v_lshrrev_b32_e32 v142, 21, v64
	v_sub_u16_e32 v141, v45, v29
	v_mul_lo_u16_e32 v29, 60, v142
	v_sub_u16_e32 v143, v46, v29
	v_mul_u32_u24_sdwa v29, v47, s1 dst_sel:DWORD dst_unused:UNUSED_PAD src0_sel:WORD_0 src1_sel:DWORD
	v_lshlrev_b32_e32 v30, 3, v139
	v_lshlrev_b32_e32 v33, 3, v141
	v_lshrrev_b32_e32 v144, 21, v29
	global_load_dwordx2 v[102:103], v30, s[8:9] offset:400
	global_load_dwordx2 v[104:105], v33, s[8:9] offset:400
	v_mul_lo_u16_e32 v30, 60, v144
	v_sub_u16_e32 v145, v47, v30
	v_lshlrev_b32_e32 v62, 3, v143
	v_lshlrev_b32_e32 v30, 3, v145
	global_load_dwordx2 v[106:107], v62, s[8:9] offset:400
	global_load_dwordx2 v[108:109], v30, s[8:9] offset:400
	v_mul_u32_u24_sdwa v30, v40, s1 dst_sel:DWORD dst_unused:UNUSED_PAD src0_sel:WORD_0 src1_sel:DWORD
	v_lshrrev_b32_e32 v146, 21, v30
	v_mul_lo_u16_e32 v33, 60, v146
	v_sub_u16_e32 v147, v40, v33
	v_mul_u32_u24_sdwa v33, v41, s1 dst_sel:DWORD dst_unused:UNUSED_PAD src0_sel:WORD_0 src1_sel:DWORD
	v_mul_lo_u16_sdwa v124, v0, s0 dst_sel:DWORD dst_unused:UNUSED_PAD src0_sel:BYTE_0 src1_sel:DWORD
	v_lshrrev_b32_e32 v148, 21, v33
	v_lshrrev_b16_e32 v152, 13, v124
	v_mul_lo_u16_e32 v116, 60, v148
	v_mul_lo_u16_e32 v124, 60, v152
	v_sub_u16_e32 v149, v41, v116
	v_sub_u16_e32 v153, v0, v124
	v_lshlrev_b32_e32 v62, 3, v147
	v_lshlrev_b32_e32 v120, 3, v149
	v_lshlrev_b32_sdwa v124, v70, v153 dst_sel:DWORD dst_unused:UNUSED_PAD src0_sel:DWORD src1_sel:BYTE_0
	global_load_dwordx2 v[116:117], v62, s[8:9] offset:400
	ds_read2st64_b32 v[126:127], v110 offset0:32 offset1:34
	global_load_dwordx2 v[120:121], v120, s[8:9] offset:400
	s_movk_i32 s0, 0x78
	global_load_dwordx2 v[124:125], v124, s[8:9] offset:400
	v_mul_u32_u24_sdwa v62, v48, s1 dst_sel:DWORD dst_unused:UNUSED_PAD src0_sel:WORD_0 src1_sel:DWORD
	v_lshrrev_b32_e32 v150, 21, v62
	v_mul_lo_u16_e32 v122, 60, v150
	v_sub_u16_e32 v151, v48, v122
	v_lshlrev_b32_e32 v122, 3, v151
	global_load_dwordx2 v[122:123], v122, s[8:9] offset:400
	v_cmp_gt_u32_e64 s[0:1], s0, v0
	s_waitcnt vmcnt(14) lgkmcnt(0)
	v_mul_f32_e32 v154, v126, v23
	v_fmac_f32_e32 v154, v16, v22
	v_mul_f32_e32 v16, v16, v23
	v_fma_f32 v126, v126, v22, -v16
	ds_read2st64_b32 v[22:23], v110 offset0:36 offset1:38
	s_waitcnt vmcnt(13)
	v_mul_f32_e32 v155, v127, v21
	v_mul_f32_e32 v16, v17, v21
	v_fmac_f32_e32 v155, v17, v20
	v_fma_f32 v20, v127, v20, -v16
	ds_read2st64_b32 v[16:17], v110 offset0:40 offset1:42
	s_waitcnt vmcnt(12) lgkmcnt(1)
	v_mul_f32_e32 v21, v22, v19
	v_fmac_f32_e32 v21, v14, v18
	v_mul_f32_e32 v14, v14, v19
	v_fma_f32 v22, v22, v18, -v14
	s_waitcnt vmcnt(11)
	v_mul_f32_e32 v18, v23, v91
	v_mul_f32_e32 v14, v15, v91
	v_fmac_f32_e32 v18, v15, v90
	v_fma_f32 v23, v23, v90, -v14
	ds_read2st64_b32 v[14:15], v110 offset0:44 offset1:46
	s_waitcnt vmcnt(10) lgkmcnt(1)
	v_mul_f32_e32 v19, v16, v95
	v_fmac_f32_e32 v19, v12, v94
	v_mul_f32_e32 v12, v12, v95
	v_fma_f32 v94, v16, v94, -v12
	;; [unrolled: 11-line block ×5, first 2 shown]
	s_waitcnt vmcnt(3)
	v_mul_f32_e32 v10, v11, v117
	v_mul_f32_e32 v6, v7, v117
	v_fmac_f32_e32 v10, v7, v116
	v_fma_f32 v103, v11, v116, -v6
	ds_read2st64_b32 v[6:7], v110 offset1:30
	s_waitcnt vmcnt(2) lgkmcnt(1)
	v_mul_f32_e32 v11, v8, v121
	v_fmac_f32_e32 v11, v4, v120
	v_mul_f32_e32 v4, v4, v121
	v_fma_f32 v104, v8, v120, -v4
	v_lshlrev_b32_sdwa v8, v26, v153 dst_sel:DWORD dst_unused:UNUSED_PAD src0_sel:DWORD src1_sel:BYTE_0
	s_waitcnt vmcnt(0)
	v_mul_f32_e32 v4, v9, v123
	v_fmac_f32_e32 v4, v5, v122
	v_mul_f32_e32 v5, v5, v123
	v_fma_f32 v105, v9, v122, -v5
	s_waitcnt lgkmcnt(0)
	v_mul_f32_e32 v5, v7, v125
	v_fmac_f32_e32 v5, v3, v124
	v_mul_f32_e32 v3, v3, v125
	v_fma_f32 v3, v7, v124, -v3
	v_sub_f32_e32 v5, v2, v5
	v_mul_u32_u24_e32 v7, 0x1e0, v152
	v_fma_f32 v2, v2, 2.0, -v5
	v_add3_u32 v106, 0, v7, v8
	ds_read_b32 v107, v111
	ds_read_b32 v108, v65
	;; [unrolled: 1-line block ×14, first 2 shown]
	s_waitcnt lgkmcnt(0)
	s_barrier
	ds_write2_b32 v106, v2, v5 offset1:60
	v_mul_u32_u24_e32 v2, 0x1e0, v93
	v_lshlrev_b32_sdwa v5, v26, v101 dst_sel:DWORD dst_unused:UNUSED_PAD src0_sel:DWORD src1_sel:BYTE_0
	v_add3_u32 v2, 0, v2, v5
	v_sub_f32_e32 v5, v89, v154
	v_fma_f32 v7, v89, 2.0, -v5
	ds_write2_b32 v2, v7, v5 offset1:60
	v_perm_b32 v5, v128, v115, s11
	v_pk_mul_lo_u16 v5, v5, s4 op_sel_hi:[1,0]
	v_lshlrev_b32_e32 v7, 2, v119
	v_and_b32_e32 v8, 0xffe0, v5
	v_add3_u32 v93, 0, v8, v7
	v_sub_f32_e32 v7, v88, v155
	v_fma_f32 v8, v88, 2.0, -v7
	ds_write2_b32 v93, v8, v7 offset1:60
	v_lshrrev_b32_e32 v5, 16, v5
	v_lshlrev_b32_e32 v7, 2, v129
	v_add3_u32 v101, 0, v5, v7
	v_sub_f32_e32 v5, v87, v21
	v_fma_f32 v7, v87, 2.0, -v5
	ds_write2_b32 v101, v7, v5 offset1:60
	v_mul_u32_u24_e32 v5, 0x1e0, v130
	v_lshlrev_b32_e32 v7, 2, v131
	v_add3_u32 v21, 0, v5, v7
	v_sub_f32_e32 v5, v86, v18
	v_fma_f32 v7, v86, 2.0, -v5
	ds_write2_b32 v21, v7, v5 offset1:60
	v_mul_u32_u24_e32 v5, 0x1e0, v132
	v_lshlrev_b32_e32 v7, 2, v133
	v_add3_u32 v115, 0, v5, v7
	v_sub_f32_e32 v5, v84, v19
	v_fma_f32 v7, v84, 2.0, -v5
	ds_write2_b32 v115, v7, v5 offset1:60
	v_perm_b32 v5, v136, v134, s11
	v_pk_mul_lo_u16 v5, v5, s4 op_sel_hi:[1,0]
	v_lshlrev_b32_e32 v7, 2, v135
	v_and_b32_e32 v8, 0xffe0, v5
	v_add3_u32 v119, 0, v8, v7
	v_sub_f32_e32 v7, v85, v16
	v_fma_f32 v8, v85, 2.0, -v7
	ds_write2_b32 v119, v8, v7 offset1:60
	v_lshrrev_b32_e32 v5, 16, v5
	v_lshlrev_b32_e32 v7, 2, v137
	v_add3_u32 v128, 0, v5, v7
	v_sub_f32_e32 v5, v83, v17
	v_fma_f32 v7, v83, 2.0, -v5
	ds_write2_b32 v128, v7, v5 offset1:60
	v_perm_b32 v5, v140, v138, s11
	v_pk_mul_lo_u16 v5, v5, s4 op_sel_hi:[1,0]
	v_lshlrev_b32_e32 v7, 2, v139
	v_and_b32_e32 v8, 0xffe0, v5
	v_add3_u32 v129, 0, v8, v7
	v_sub_f32_e32 v7, v81, v14
	v_fma_f32 v8, v81, 2.0, -v7
	ds_write2_b32 v129, v8, v7 offset1:60
	v_lshrrev_b32_e32 v5, 16, v5
	;; [unrolled: 14-line block ×4, first 2 shown]
	v_lshlrev_b32_e32 v7, 2, v149
	v_add3_u32 v134, 0, v5, v7
	v_sub_f32_e32 v5, v25, v11
	v_fma_f32 v7, v25, 2.0, -v5
	ds_write2_b32 v134, v7, v5 offset1:60
	v_mul_u32_u24_e32 v5, 0x1e0, v150
	v_lshlrev_b32_e32 v7, 2, v151
	v_sub_f32_e32 v4, v24, v4
	v_sub_f32_e32 v3, v6, v3
	v_add3_u32 v25, 0, v5, v7
	v_fma_f32 v5, v24, 2.0, -v4
	v_fma_f32 v24, v6, 2.0, -v3
	ds_write2_b32 v25, v5, v4 offset1:60
	s_waitcnt lgkmcnt(0)
	s_barrier
	ds_read_b32 v87, v111
	ds_read_b32 v86, v65
	;; [unrolled: 1-line block ×14, first 2 shown]
	ds_read2st64_b32 v[4:5], v110 offset1:30
	ds_read2st64_b32 v[18:19], v110 offset0:32 offset1:34
	ds_read2st64_b32 v[16:17], v110 offset0:36 offset1:38
	;; [unrolled: 1-line block ×7, first 2 shown]
	s_waitcnt lgkmcnt(0)
	s_barrier
	ds_write2_b32 v106, v24, v3 offset1:60
	v_sub_f32_e32 v3, v152, v126
	v_fma_f32 v24, v152, 2.0, -v3
	ds_write2_b32 v2, v24, v3 offset1:60
	v_sub_f32_e32 v2, v127, v20
	v_fma_f32 v3, v127, 2.0, -v2
	;; [unrolled: 3-line block ×14, first 2 shown]
	v_lshrrev_b16_e32 v93, 14, v78
	ds_write2_b32 v25, v3, v2 offset1:60
	v_mul_lo_u16_e32 v2, 0x78, v93
	v_sub_u16_e32 v101, v42, v2
	v_lshlrev_b32_sdwa v2, v70, v101 dst_sel:DWORD dst_unused:UNUSED_PAD src0_sel:DWORD src1_sel:BYTE_0
	v_lshrrev_b32_e32 v70, 22, v79
	v_lshrrev_b32_e32 v119, 22, v69
	v_mul_lo_u16_e32 v3, 0x78, v70
	v_mul_lo_u16_e32 v20, 0x78, v119
	v_sub_u16_e32 v115, v50, v3
	v_sub_u16_e32 v128, v55, v20
	s_waitcnt lgkmcnt(0)
	s_barrier
	v_lshlrev_b32_e32 v3, 3, v115
	v_lshlrev_b32_e32 v78, 3, v128
	global_load_dwordx2 v[24:25], v2, s[8:9] offset:880
	global_load_dwordx2 v[22:23], v3, s[8:9] offset:880
	;; [unrolled: 1-line block ×3, first 2 shown]
	v_lshrrev_b32_e32 v129, 22, v66
	v_mul_lo_u16_e32 v2, 0x78, v129
	v_sub_u16_e32 v130, v54, v2
	v_lshrrev_b32_e32 v131, 22, v68
	v_lshrrev_b32_e32 v133, 22, v27
	v_lshlrev_b32_e32 v2, 3, v130
	v_mul_lo_u16_e32 v3, 0x78, v131
	v_mul_lo_u16_e32 v78, 0x78, v133
	v_sub_u16_e32 v132, v52, v3
	v_sub_u16_e32 v134, v38, v78
	global_load_dwordx2 v[78:79], v2, s[8:9] offset:880
	v_lshlrev_b32_e32 v3, 3, v132
	global_load_dwordx2 v[94:95], v3, s[8:9] offset:880
	v_lshrrev_b32_e32 v135, 22, v28
	v_mul_lo_u16_e32 v2, 0x78, v135
	v_sub_u16_e32 v136, v39, v2
	v_lshlrev_b32_e32 v2, 3, v134
	v_lshrrev_b32_e32 v137, 22, v32
	v_lshlrev_b32_e32 v3, 3, v136
	global_load_dwordx2 v[96:97], v2, s[8:9] offset:880
	global_load_dwordx2 v[98:99], v3, s[8:9] offset:880
	v_mul_lo_u16_e32 v2, 0x78, v137
	v_sub_u16_e32 v138, v44, v2
	v_lshrrev_b32_e32 v139, 22, v63
	v_lshlrev_b32_e32 v2, 3, v138
	v_mul_lo_u16_e32 v3, 0x78, v139
	v_sub_u16_e32 v140, v45, v3
	v_lshrrev_b32_e32 v141, 22, v64
	global_load_dwordx2 v[102:103], v2, s[8:9] offset:880
	v_lshlrev_b32_e32 v3, 3, v140
	v_mul_lo_u16_e32 v104, 0x78, v141
	v_lshrrev_b32_e32 v143, 22, v29
	v_sub_u16_e32 v142, v46, v104
	global_load_dwordx2 v[104:105], v3, s[8:9] offset:880
	v_mul_lo_u16_e32 v3, 0x78, v143
	v_sub_u16_e32 v144, v47, v3
	v_lshlrev_b32_e32 v2, 3, v142
	v_lshlrev_b32_e32 v3, 3, v144
	v_lshrrev_b32_e32 v145, 22, v30
	v_lshrrev_b32_e32 v147, 22, v33
	global_load_dwordx2 v[106:107], v2, s[8:9] offset:880
	global_load_dwordx2 v[108:109], v3, s[8:9] offset:880
	v_mul_lo_u16_e32 v2, 0x78, v145
	v_mul_lo_u16_e32 v3, 0x78, v147
	v_sub_u16_e32 v146, v40, v2
	v_sub_u16_e32 v148, v41, v3
	v_lshlrev_b32_e32 v2, 3, v146
	v_lshlrev_b32_e32 v3, 3, v148
	v_lshrrev_b32_e32 v149, 22, v62
	global_load_dwordx2 v[116:117], v2, s[8:9] offset:880
	global_load_dwordx2 v[120:121], v3, s[8:9] offset:880
	v_mul_lo_u16_e32 v2, 0x78, v149
	v_sub_u16_e32 v150, v48, v2
	v_lshlrev_b32_e32 v2, 3, v150
	global_load_dwordx2 v[122:123], v2, s[8:9] offset:880
	v_add_u32_e32 v2, 0xffffff88, v0
	v_cndmask_b32_e64 v2, v2, v0, s[0:1]
	v_mov_b32_e32 v3, 0
	v_lshl_add_u64 v[124:125], v[2:3], 3, s[8:9]
	global_load_dwordx2 v[124:125], v[124:125], off offset:880
	ds_read2st64_b32 v[126:127], v110 offset0:32 offset1:34
	s_movk_i32 s0, 0x77
	v_cmp_lt_u32_e64 s[0:1], s0, v0
	v_lshlrev_b32_e32 v2, 2, v2
	v_lshrrev_b32_e32 v66, 23, v66
	v_mul_lo_u16_e32 v66, 0xf0, v66
	v_sub_u16_e32 v54, v54, v66
	v_lshrrev_b32_e32 v66, 23, v68
	s_waitcnt vmcnt(14) lgkmcnt(0)
	v_mul_f32_e32 v151, v126, v25
	v_fmac_f32_e32 v151, v18, v24
	v_mul_f32_e32 v18, v18, v25
	v_fma_f32 v126, v126, v24, -v18
	ds_read2st64_b32 v[24:25], v110 offset0:36 offset1:38
	s_waitcnt vmcnt(13)
	v_mul_f32_e32 v152, v127, v23
	v_mul_f32_e32 v18, v19, v23
	v_fmac_f32_e32 v152, v19, v22
	v_fma_f32 v127, v127, v22, -v18
	ds_read2st64_b32 v[18:19], v110 offset0:40 offset1:42
	s_waitcnt vmcnt(12) lgkmcnt(1)
	v_mul_f32_e32 v22, v24, v21
	v_fmac_f32_e32 v22, v16, v20
	v_mul_f32_e32 v16, v16, v21
	v_fma_f32 v153, v24, v20, -v16
	s_waitcnt vmcnt(11)
	v_mul_f32_e32 v20, v25, v79
	v_mul_f32_e32 v16, v17, v79
	v_fmac_f32_e32 v20, v17, v78
	v_fma_f32 v154, v25, v78, -v16
	ds_read2st64_b32 v[16:17], v110 offset0:44 offset1:46
	s_waitcnt vmcnt(10) lgkmcnt(1)
	v_mul_f32_e32 v21, v18, v95
	v_fmac_f32_e32 v21, v14, v94
	v_mul_f32_e32 v14, v14, v95
	v_fma_f32 v94, v18, v94, -v14
	;; [unrolled: 11-line block ×5, first 2 shown]
	s_waitcnt vmcnt(3)
	v_mul_f32_e32 v12, v13, v117
	v_mul_f32_e32 v8, v9, v117
	v_fmac_f32_e32 v12, v9, v116
	v_fma_f32 v103, v13, v116, -v8
	ds_read2st64_b32 v[8:9], v110 offset1:30
	s_waitcnt vmcnt(2) lgkmcnt(1)
	v_mul_f32_e32 v13, v10, v121
	v_fmac_f32_e32 v13, v6, v120
	v_mul_f32_e32 v6, v6, v121
	v_fma_f32 v104, v10, v120, -v6
	s_waitcnt vmcnt(1)
	v_mul_f32_e32 v6, v11, v123
	v_fmac_f32_e32 v6, v7, v122
	v_mul_f32_e32 v7, v7, v123
	v_fma_f32 v105, v11, v122, -v7
	s_waitcnt vmcnt(0) lgkmcnt(0)
	v_mul_f32_e32 v7, v9, v125
	v_fmac_f32_e32 v7, v5, v124
	v_mul_f32_e32 v5, v5, v125
	v_fma_f32 v5, v9, v124, -v5
	v_mov_b32_e32 v9, 0x3c0
	v_sub_f32_e32 v7, v4, v7
	v_cndmask_b32_e64 v9, 0, v9, s[0:1]
	v_fma_f32 v4, v4, 2.0, -v7
	v_add3_u32 v2, 0, v9, v2
	ds_read_b32 v106, v111
	ds_read_b32 v107, v65
	;; [unrolled: 1-line block ×14, first 2 shown]
	s_waitcnt lgkmcnt(0)
	s_barrier
	ds_write2_b32 v2, v4, v7 offset1:120
	v_lshlrev_b32_sdwa v4, v26, v101 dst_sel:DWORD dst_unused:UNUSED_PAD src0_sel:DWORD src1_sel:BYTE_0
	v_mul_u32_u24_e32 v7, 0x3c0, v93
	v_add3_u32 v4, 0, v7, v4
	v_sub_f32_e32 v7, v91, v151
	v_fma_f32 v9, v91, 2.0, -v7
	ds_write2_b32 v4, v9, v7 offset1:120
	v_mul_u32_u24_e32 v7, 0x3c0, v70
	v_lshlrev_b32_e32 v9, 2, v115
	v_add3_u32 v91, 0, v7, v9
	v_sub_f32_e32 v7, v90, v152
	v_fma_f32 v9, v90, 2.0, -v7
	ds_write2_b32 v91, v9, v7 offset1:120
	v_perm_b32 v7, v119, v129, s11
	v_pk_mul_lo_u16 v7, v7, s10 op_sel_hi:[1,0]
	v_lshlrev_b32_e32 v9, 2, v128
	v_lshrrev_b32_e32 v10, 16, v7
	v_add3_u32 v90, 0, v10, v9
	v_sub_f32_e32 v9, v89, v22
	v_fma_f32 v10, v89, 2.0, -v9
	ds_write2_b32 v90, v10, v9 offset1:120
	v_and_b32_e32 v7, 0xffc0, v7
	v_lshlrev_b32_e32 v9, 2, v130
	v_add3_u32 v89, 0, v7, v9
	v_sub_f32_e32 v7, v88, v20
	v_fma_f32 v9, v88, 2.0, -v7
	ds_write2_b32 v89, v9, v7 offset1:120
	v_perm_b32 v7, v133, v131, s11
	v_pk_mul_lo_u16 v7, v7, s10 op_sel_hi:[1,0]
	v_lshlrev_b32_e32 v9, 2, v132
	v_and_b32_e32 v10, 0xffc0, v7
	v_add3_u32 v88, 0, v10, v9
	v_sub_f32_e32 v9, v87, v21
	v_fma_f32 v10, v87, 2.0, -v9
	ds_write2_b32 v88, v10, v9 offset1:120
	v_lshrrev_b32_e32 v7, 16, v7
	v_lshlrev_b32_e32 v9, 2, v134
	v_add3_u32 v87, 0, v7, v9
	v_sub_f32_e32 v7, v86, v18
	v_fma_f32 v9, v86, 2.0, -v7
	ds_write2_b32 v87, v9, v7 offset1:120
	v_mul_u32_u24_e32 v7, 0x3c0, v135
	v_lshlrev_b32_e32 v9, 2, v136
	v_add3_u32 v86, 0, v7, v9
	v_sub_f32_e32 v7, v85, v19
	v_fma_f32 v9, v85, 2.0, -v7
	ds_write2_b32 v86, v9, v7 offset1:120
	v_mul_u32_u24_e32 v7, 0x3c0, v137
	;; [unrolled: 6-line block ×8, first 2 shown]
	v_lshlrev_b32_e32 v9, 2, v150
	v_sub_f32_e32 v6, v72, v6
	v_sub_f32_e32 v5, v8, v5
	v_add3_u32 v128, 0, v7, v9
	v_fma_f32 v7, v72, 2.0, -v6
	v_fma_f32 v129, v8, 2.0, -v5
	ds_write2_b32 v128, v7, v6 offset1:120
	s_waitcnt lgkmcnt(0)
	s_barrier
	ds_read_b32 v77, v111
	ds_read_b32 v78, v65
	ds_read_b32 v76, v67
	ds_read_b32 v72, v71
	ds_read_b32 v26, v31
	ds_read_b32 v79, v114
	ds_read_b32 v80, v113
	ds_read_b32 v70, v112
	ds_read_b32 v25, v73
	ds_read_b32 v24, v74
	ds_read_b32 v22, v75
	ds_read_b32 v81, v49
	ds_read_b32 v83, v118
	ds_read_b32 v23, v82
	ds_read2st64_b32 v[6:7], v110 offset1:30
	ds_read2st64_b32 v[20:21], v110 offset0:32 offset1:34
	ds_read2st64_b32 v[18:19], v110 offset0:36 offset1:38
	;; [unrolled: 1-line block ×7, first 2 shown]
	s_waitcnt lgkmcnt(0)
	s_barrier
	ds_write2_b32 v2, v129, v5 offset1:120
	v_sub_f32_e32 v2, v155, v126
	v_fma_f32 v5, v155, 2.0, -v2
	ds_write2_b32 v4, v5, v2 offset1:120
	v_sub_f32_e32 v2, v125, v127
	v_fma_f32 v4, v125, 2.0, -v2
	;; [unrolled: 3-line block ×14, first 2 shown]
	v_lshrrev_b32_e32 v93, 23, v69
	ds_write2_b32 v128, v4, v2 offset1:120
	v_add_u32_e32 v2, 0xffffff90, v0
	v_cmp_gt_u32_e64 s[0:1], s5, v42
	v_mul_lo_u16_e32 v69, 0xf0, v93
	v_sub_u16_e32 v101, v55, v69
	v_cndmask_b32_e64 v2, v2, v42, s[0:1]
	v_lshl_add_u64 v[84:85], v[2:3], 3, s[8:9]
	v_lshl_add_u64 v[4:5], v[0:1], 3, s[8:9]
	v_lshlrev_b32_e32 v1, 3, v101
	s_waitcnt lgkmcnt(0)
	s_barrier
	global_load_dwordx2 v[84:85], v[84:85], off offset:1840
	s_nop 0
	global_load_dwordx2 v[86:87], v[4:5], off offset:1968
	global_load_dwordx2 v[68:69], v1, s[8:9] offset:1840
	v_mul_lo_u16_e32 v1, 0xf0, v66
	v_sub_u16_e32 v115, v52, v1
	v_lshlrev_b32_e32 v94, 3, v54
	v_lshlrev_b32_e32 v1, 3, v115
	global_load_dwordx2 v[88:89], v94, s[8:9] offset:1840
	global_load_dwordx2 v[90:91], v1, s[8:9] offset:1840
	v_lshrrev_b32_e32 v1, 23, v27
	v_mul_lo_u16_e32 v1, 0xf0, v1
	v_sub_u16_e32 v27, v38, v1
	v_lshrrev_b32_e32 v38, 23, v28
	v_mul_lo_u16_e32 v94, 0xf0, v38
	v_sub_u16_e32 v119, v39, v94
	v_lshlrev_b32_e32 v1, 3, v27
	v_lshlrev_b32_e32 v96, 3, v119
	global_load_dwordx2 v[94:95], v1, s[8:9] offset:1840
	v_lshrrev_b32_e32 v127, 23, v63
	global_load_dwordx2 v[96:97], v96, s[8:9] offset:1840
	v_lshrrev_b32_e32 v1, 23, v32
	v_mul_lo_u16_e32 v1, 0xf0, v1
	v_sub_u16_e32 v126, v44, v1
	v_mul_lo_u16_e32 v98, 0xf0, v127
	v_lshlrev_b32_e32 v1, 3, v126
	v_sub_u16_e32 v128, v45, v98
	global_load_dwordx2 v[98:99], v1, s[8:9] offset:1840
	v_lshlrev_b32_e32 v1, 3, v128
	global_load_dwordx2 v[102:103], v1, s[8:9] offset:1840
	v_lshrrev_b32_e32 v1, 23, v64
	v_mul_lo_u16_e32 v1, 0xf0, v1
	v_lshrrev_b32_e32 v130, 23, v29
	v_sub_u16_e32 v129, v46, v1
	v_mul_lo_u16_e32 v106, 0xf0, v130
	v_lshlrev_b32_e32 v1, 3, v129
	v_sub_u16_e32 v131, v47, v106
	global_load_dwordx2 v[104:105], v1, s[8:9] offset:1840
	v_lshlrev_b32_e32 v1, 3, v131
	v_lshrrev_b32_e32 v108, 23, v30
	global_load_dwordx2 v[106:107], v1, s[8:9] offset:1840
	v_mul_lo_u16_e32 v1, 0xf0, v108
	v_sub_u16_e32 v132, v40, v1
	v_lshlrev_b32_e32 v1, 3, v132
	v_lshrrev_b32_e32 v133, 23, v33
	global_load_dwordx2 v[108:109], v1, s[8:9] offset:1840
	v_mul_lo_u16_e32 v1, 0xf0, v133
	v_sub_u16_e32 v134, v41, v1
	v_lshlrev_b32_e32 v1, 3, v134
	global_load_dwordx2 v[116:117], v1, s[8:9] offset:1840
	v_lshrrev_b32_e32 v1, 23, v62
	v_mul_lo_u16_e32 v1, 0xf0, v1
	v_sub_u16_e32 v135, v48, v1
	v_lshlrev_b32_e32 v1, 3, v135
	global_load_dwordx2 v[120:121], v1, s[8:9] offset:1840
	global_load_dwordx2 v[122:123], v[4:5], off offset:1840
	ds_read2st64_b32 v[124:125], v110 offset0:32 offset1:34
	s_movk_i32 s0, 0xef
	v_cmp_lt_u32_e64 s[0:1], s0, v42
	v_lshlrev_b32_e32 v2, 2, v2
	v_lshl_add_u32 v54, v54, 2, 0
	v_lshl_add_u32 v27, v27, 2, 0
	s_movk_i32 s5, 0x1000
	v_mul_lo_u16_sdwa v32, v32, s4 dst_sel:DWORD dst_unused:UNUSED_PAD src0_sel:BYTE_3 src1_sel:DWORD
	v_mul_lo_u16_sdwa v30, v30, s4 dst_sel:DWORD dst_unused:UNUSED_PAD src0_sel:BYTE_3 src1_sel:DWORD
	v_sub_u16_e32 v30, v40, v30
	v_mul_lo_u16_sdwa v62, v62, s4 dst_sel:DWORD dst_unused:UNUSED_PAD src0_sel:BYTE_3 src1_sel:DWORD
	s_waitcnt vmcnt(14) lgkmcnt(0)
	v_mul_f32_e32 v1, v124, v85
	v_fmac_f32_e32 v1, v20, v84
	v_mul_f32_e32 v20, v20, v85
	v_fma_f32 v124, v124, v84, -v20
	ds_read2st64_b32 v[84:85], v110 offset0:36 offset1:38
	s_waitcnt vmcnt(13)
	v_mul_f32_e32 v136, v125, v87
	v_mul_f32_e32 v20, v21, v87
	v_fmac_f32_e32 v136, v21, v86
	v_fma_f32 v86, v125, v86, -v20
	ds_read2st64_b32 v[20:21], v110 offset0:40 offset1:42
	s_waitcnt vmcnt(12) lgkmcnt(1)
	v_mul_f32_e32 v87, v84, v69
	v_fmac_f32_e32 v87, v18, v68
	v_mul_f32_e32 v18, v18, v69
	v_fma_f32 v84, v84, v68, -v18
	s_waitcnt vmcnt(11)
	v_mul_f32_e32 v68, v85, v89
	v_mul_f32_e32 v18, v19, v89
	v_fmac_f32_e32 v68, v19, v88
	v_fma_f32 v85, v85, v88, -v18
	ds_read2st64_b32 v[18:19], v110 offset0:44 offset1:46
	s_waitcnt vmcnt(10) lgkmcnt(1)
	v_mul_f32_e32 v69, v20, v91
	v_fmac_f32_e32 v69, v16, v90
	v_mul_f32_e32 v16, v16, v91
	v_fma_f32 v88, v20, v90, -v16
	s_waitcnt vmcnt(9)
	v_mul_f32_e32 v20, v21, v95
	v_mul_f32_e32 v16, v17, v95
	v_fmac_f32_e32 v20, v17, v94
	v_fma_f32 v89, v21, v94, -v16
	ds_read2st64_b32 v[16:17], v110 offset0:48 offset1:50
	s_waitcnt vmcnt(8) lgkmcnt(1)
	v_mul_f32_e32 v21, v18, v97
	v_fmac_f32_e32 v21, v14, v96
	v_mul_f32_e32 v14, v14, v97
	v_fma_f32 v90, v18, v96, -v14
	s_waitcnt vmcnt(7)
	v_mul_f32_e32 v18, v19, v99
	v_mul_f32_e32 v14, v15, v99
	v_fmac_f32_e32 v18, v15, v98
	v_fma_f32 v91, v19, v98, -v14
	ds_read2st64_b32 v[14:15], v110 offset0:52 offset1:54
	s_waitcnt vmcnt(6) lgkmcnt(1)
	v_mul_f32_e32 v19, v16, v103
	v_fmac_f32_e32 v19, v12, v102
	v_mul_f32_e32 v12, v12, v103
	v_fma_f32 v94, v16, v102, -v12
	s_waitcnt vmcnt(5)
	v_mul_f32_e32 v16, v17, v105
	v_mul_f32_e32 v12, v13, v105
	v_fmac_f32_e32 v16, v13, v104
	v_fma_f32 v95, v17, v104, -v12
	ds_read2st64_b32 v[12:13], v110 offset0:56 offset1:58
	s_waitcnt vmcnt(4) lgkmcnt(1)
	v_mul_f32_e32 v17, v14, v107
	v_fmac_f32_e32 v17, v10, v106
	v_mul_f32_e32 v10, v10, v107
	v_fma_f32 v96, v14, v106, -v10
	s_waitcnt vmcnt(3)
	v_mul_f32_e32 v14, v15, v109
	v_mul_f32_e32 v10, v11, v109
	v_fmac_f32_e32 v14, v11, v108
	v_fma_f32 v97, v15, v108, -v10
	ds_read2st64_b32 v[10:11], v110 offset1:30
	s_waitcnt vmcnt(2) lgkmcnt(1)
	v_mul_f32_e32 v15, v12, v117
	v_fmac_f32_e32 v15, v8, v116
	v_mul_f32_e32 v8, v8, v117
	v_fma_f32 v8, v12, v116, -v8
	s_waitcnt vmcnt(1)
	v_mul_f32_e32 v12, v13, v121
	v_fmac_f32_e32 v12, v9, v120
	v_mul_f32_e32 v9, v9, v121
	v_fma_f32 v9, v13, v120, -v9
	s_waitcnt vmcnt(0) lgkmcnt(0)
	v_mul_f32_e32 v13, v11, v123
	v_fmac_f32_e32 v13, v7, v122
	v_mul_f32_e32 v7, v7, v123
	v_fma_f32 v7, v11, v122, -v7
	v_sub_f32_e32 v11, v6, v13
	v_fma_f32 v6, v6, 2.0, -v11
	ds_read_b32 v98, v118
	ds_read_b32 v99, v49
	;; [unrolled: 1-line block ×14, first 2 shown]
	s_waitcnt lgkmcnt(0)
	s_barrier
	ds_write2_b32 v110, v6, v11 offset1:240
	v_mov_b32_e32 v6, 0x780
	v_cndmask_b32_e64 v6, 0, v6, s[0:1]
	v_sub_f32_e32 v1, v83, v1
	v_add3_u32 v2, 0, v6, v2
	v_fma_f32 v6, v83, 2.0, -v1
	ds_write2_b32 v2, v6, v1 offset1:240
	v_sub_f32_e32 v6, v81, v136
	v_lshl_add_u32 v1, v0, 2, 0
	v_fma_f32 v11, v81, 2.0, -v6
	v_add_u32_e32 v83, 0x7c0, v1
	ds_write2_b32 v83, v11, v6 offset1:240
	v_mul_u32_u24_e32 v6, 0x780, v93
	v_lshlrev_b32_e32 v11, 2, v101
	v_add3_u32 v6, 0, v6, v11
	v_sub_f32_e32 v11, v80, v87
	v_fma_f32 v13, v80, 2.0, -v11
	ds_write2_b32 v6, v13, v11 offset1:240
	v_sub_f32_e32 v11, v79, v68
	v_fma_f32 v13, v79, 2.0, -v11
	v_add_u32_e32 v87, 0xf00, v54
	ds_write2_b32 v87, v13, v11 offset1:240
	v_mul_u32_u24_e32 v11, 0x780, v66
	v_lshlrev_b32_e32 v13, 2, v115
	v_add3_u32 v11, 0, v11, v13
	v_sub_f32_e32 v13, v77, v69
	v_fma_f32 v54, v77, 2.0, -v13
	ds_write2_b32 v11, v54, v13 offset1:240
	v_sub_f32_e32 v13, v78, v20
	;; [unrolled: 10-line block ×3, first 2 shown]
	v_lshl_add_u32 v20, v126, 2, 0
	v_fma_f32 v18, v72, 2.0, -v13
	v_add_u32_e32 v115, 0x1e00, v20
	ds_write2_b32 v115, v18, v13 offset1:240
	v_mul_u32_u24_e32 v13, 0x780, v127
	v_lshlrev_b32_e32 v18, 2, v128
	v_add3_u32 v119, 0, v13, v18
	v_sub_f32_e32 v13, v26, v19
	v_fma_f32 v18, v26, 2.0, -v13
	ds_write2_b32 v119, v18, v13 offset1:240
	v_sub_f32_e32 v13, v70, v16
	v_lshl_add_u32 v18, v129, 2, 0
	v_fma_f32 v16, v70, 2.0, -v13
	v_add_u32_e32 v122, 0x2580, v18
	ds_write2_b32 v122, v16, v13 offset1:240
	v_mul_u32_u24_e32 v13, 0x780, v130
	v_lshlrev_b32_e32 v16, 2, v131
	v_add3_u32 v123, 0, v13, v16
	v_sub_f32_e32 v13, v25, v17
	v_fma_f32 v16, v25, 2.0, -v13
	ds_write2_b32 v123, v16, v13 offset1:240
	v_sub_f32_e32 v13, v24, v14
	;; [unrolled: 11-line block ×3, first 2 shown]
	v_lshl_add_u32 v14, v135, 2, 0
	v_sub_f32_e32 v7, v10, v7
	v_fma_f32 v13, v23, 2.0, -v12
	v_add_u32_e32 v127, 0x3480, v14
	v_fma_f32 v10, v10, 2.0, -v7
	ds_write2_b32 v127, v13, v12 offset1:240
	s_waitcnt lgkmcnt(0)
	s_barrier
	ds_read_b32 v78, v111
	ds_read_b32 v77, v65
	ds_read_b32 v76, v67
	ds_read_b32 v72, v71
	ds_read_b32 v70, v31
	ds_read_b32 v79, v114
	ds_read_b32 v80, v113
	ds_read_b32 v69, v112
	ds_read_b32 v68, v73
	ds_read_b32 v66, v74
	ds_read_b32 v54, v75
	ds_read_b32 v81, v49
	ds_read_b32 v128, v118
	ds_read_b32 v38, v82
	ds_read2st64_b32 v[12:13], v110 offset1:30
	ds_read2st64_b32 v[26:27], v110 offset0:32 offset1:34
	ds_read2st64_b32 v[24:25], v110 offset0:36 offset1:38
	;; [unrolled: 1-line block ×7, first 2 shown]
	s_waitcnt lgkmcnt(0)
	s_barrier
	ds_write2_b32 v110, v10, v7 offset1:240
	v_sub_f32_e32 v7, v98, v124
	v_fma_f32 v10, v98, 2.0, -v7
	ds_write2_b32 v2, v10, v7 offset1:240
	v_sub_f32_e32 v2, v99, v86
	v_fma_f32 v7, v99, 2.0, -v2
	;; [unrolled: 3-line block ×12, first 2 shown]
	ds_write2_b32 v125, v6, v2 offset1:240
	v_sub_f32_e32 v2, v120, v8
	v_sub_f32_e32 v7, v121, v9
	v_fma_f32 v6, v120, 2.0, -v2
	v_fma_f32 v8, v121, 2.0, -v7
	ds_write2_b32 v126, v6, v2 offset1:240
	ds_write2_b32 v127, v8, v7 offset1:240
	v_lshl_add_u64 v[8:9], v[42:43], 3, s[8:9]
	s_waitcnt lgkmcnt(0)
	s_barrier
	global_load_dwordx2 v[84:85], v[8:9], off offset:3760
	v_lshl_add_u64 v[6:7], v[50:51], 3, s[8:9]
	global_load_dwordx2 v[86:87], v[6:7], off offset:3760
	v_add_u32_e32 v2, 0xffffffa0, v0
	v_cmp_gt_u32_e64 s[0:1], s4, v55
	v_mul_lo_u16_sdwa v43, v28, s4 dst_sel:DWORD dst_unused:UNUSED_PAD src0_sel:BYTE_3 src1_sel:DWORD
	v_sub_u16_e32 v43, v39, v43
	v_cndmask_b32_e64 v2, v2, v55, s[0:1]
	v_lshl_add_u64 v[10:11], v[2:3], 3, s[8:9]
	global_load_dwordx2 v[88:89], v[10:11], off offset:3760
	global_load_dwordx2 v[90:91], v[4:5], off offset:4016
	v_add_co_u32_e64 v10, s[0:1], s5, v4
	v_lshlrev_b32_e32 v51, 3, v43
	s_nop 0
	v_addc_co_u32_e64 v11, s[0:1], 0, v5, s[0:1]
	global_load_dwordx2 v[94:95], v[10:11], off offset:944
	global_load_dwordx2 v[96:97], v[10:11], off offset:1968
	global_load_dwordx2 v[98:99], v51, s[8:9] offset:3760
	v_sub_u16_e32 v51, v44, v32
	v_lshlrev_b32_e32 v32, 3, v51
	global_load_dwordx2 v[102:103], v32, s[8:9] offset:3760
	v_mul_lo_u16_sdwa v32, v63, s4 dst_sel:DWORD dst_unused:UNUSED_PAD src0_sel:BYTE_3 src1_sel:DWORD
	v_sub_u16_e32 v83, v45, v32
	v_lshlrev_b32_e32 v32, 3, v83
	global_load_dwordx2 v[104:105], v32, s[8:9] offset:3760
	v_mul_lo_u16_sdwa v32, v64, s4 dst_sel:DWORD dst_unused:UNUSED_PAD src0_sel:BYTE_3 src1_sel:DWORD
	;; [unrolled: 4-line block ×3, first 2 shown]
	v_sub_u16_e32 v93, v47, v32
	v_lshlrev_b32_e32 v32, 3, v93
	global_load_dwordx2 v[108:109], v32, s[8:9] offset:3760
	v_lshlrev_b32_e32 v32, 3, v30
	global_load_dwordx2 v[116:117], v32, s[8:9] offset:3760
	v_mul_lo_u16_sdwa v32, v33, s4 dst_sel:DWORD dst_unused:UNUSED_PAD src0_sel:BYTE_3 src1_sel:DWORD
	v_sub_u16_e32 v101, v41, v32
	v_lshlrev_b32_e32 v32, 3, v101
	global_load_dwordx2 v[32:33], v32, s[8:9] offset:3760
	v_sub_u16_e32 v115, v48, v62
	v_lshlrev_b32_e32 v119, 3, v115
	global_load_dwordx2 v[62:63], v119, s[8:9] offset:3760
	global_load_dwordx2 v[120:121], v[4:5], off offset:3760
	ds_read2st64_b32 v[122:123], v110 offset0:32 offset1:34
	s_movk_i32 s0, 0x1df
	v_cmp_lt_u32_e64 s[0:1], s0, v55
	v_lshlrev_b32_e32 v2, 2, v2
	v_add_u32_e32 v55, 0x80, v1
	s_movk_i32 s4, 0xf00
	s_waitcnt vmcnt(14) lgkmcnt(0)
	v_mul_f32_e32 v119, v122, v85
	v_fmac_f32_e32 v119, v26, v84
	v_mul_f32_e32 v26, v26, v85
	v_fma_f32 v122, v122, v84, -v26
	ds_read2st64_b32 v[84:85], v110 offset0:36 offset1:38
	s_waitcnt vmcnt(13)
	v_mul_f32_e32 v124, v123, v87
	v_mul_f32_e32 v26, v27, v87
	v_fmac_f32_e32 v124, v27, v86
	v_fma_f32 v86, v123, v86, -v26
	ds_read2st64_b32 v[26:27], v110 offset0:40 offset1:42
	s_waitcnt vmcnt(12) lgkmcnt(1)
	v_mul_f32_e32 v87, v84, v89
	v_fmac_f32_e32 v87, v24, v88
	v_mul_f32_e32 v24, v24, v89
	v_fma_f32 v84, v84, v88, -v24
	s_waitcnt vmcnt(11)
	v_mul_f32_e32 v88, v85, v91
	v_mul_f32_e32 v24, v25, v91
	v_fmac_f32_e32 v88, v25, v90
	v_fma_f32 v85, v85, v90, -v24
	ds_read2st64_b32 v[24:25], v110 offset0:44 offset1:46
	s_waitcnt vmcnt(10) lgkmcnt(1)
	v_mul_f32_e32 v89, v26, v95
	v_fmac_f32_e32 v89, v22, v94
	v_mul_f32_e32 v22, v22, v95
	v_fma_f32 v26, v26, v94, -v22
	;; [unrolled: 11-line block ×5, first 2 shown]
	s_waitcnt vmcnt(3)
	v_mul_f32_e32 v20, v21, v117
	v_mul_f32_e32 v16, v17, v117
	v_fmac_f32_e32 v20, v17, v116
	v_fma_f32 v99, v21, v116, -v16
	ds_read2st64_b32 v[16:17], v110 offset1:30
	s_waitcnt vmcnt(2) lgkmcnt(1)
	v_mul_f32_e32 v21, v18, v33
	v_fmac_f32_e32 v21, v14, v32
	v_mul_f32_e32 v14, v14, v33
	v_fma_f32 v102, v18, v32, -v14
	s_waitcnt vmcnt(1)
	v_mul_f32_e32 v14, v19, v63
	v_fmac_f32_e32 v14, v15, v62
	v_mul_f32_e32 v15, v15, v63
	v_fma_f32 v62, v19, v62, -v15
	s_waitcnt vmcnt(0) lgkmcnt(0)
	v_mul_f32_e32 v15, v17, v121
	v_fmac_f32_e32 v15, v13, v120
	v_sub_f32_e32 v15, v12, v15
	v_mul_f32_e32 v13, v13, v121
	v_fma_f32 v12, v12, 2.0, -v15
	v_fma_f32 v13, v17, v120, -v13
	ds_read_b32 v63, v118
	ds_read_b32 v103, v49
	;; [unrolled: 1-line block ×14, first 2 shown]
	s_waitcnt lgkmcnt(0)
	s_barrier
	ds_write_b32 v110, v12
	ds_write_b32 v110, v15 offset:1920
	v_sub_f32_e32 v12, v128, v119
	v_fma_f32 v15, v128, 2.0, -v12
	ds_write_b32 v118, v15
	ds_write_b32 v118, v12 offset:1920
	v_sub_f32_e32 v12, v81, v124
	v_fma_f32 v15, v81, 2.0, -v12
	ds_write_b32 v49, v15
	ds_write_b32 v49, v12 offset:1920
	v_mov_b32_e32 v12, 0xf00
	v_cndmask_b32_e64 v12, 0, v12, s[0:1]
	v_add3_u32 v2, 0, v12, v2
	v_sub_f32_e32 v12, v80, v87
	v_fma_f32 v15, v80, 2.0, -v12
	ds_write_b32 v2, v15
	ds_write_b32 v2, v12 offset:1920
	v_sub_f32_e32 v12, v79, v88
	v_sub_f32_e32 v17, v78, v89
	v_fma_f32 v15, v79, 2.0, -v12
	v_fma_f32 v18, v78, 2.0, -v17
	ds_write2st64_b32 v55, v15, v18 offset0:15 offset1:17
	v_sub_f32_e32 v15, v77, v90
	v_fma_f32 v18, v77, 2.0, -v15
	v_add_u32_e32 v77, 0x1380, v1
	ds_write2_b32 v77, v18, v12 offset1:224
	ds_write2st64_b32 v1, v17, v15 offset0:25 offset1:27
	v_sub_f32_e32 v78, v16, v13
	v_mul_u32_u24_sdwa v12, v28, s4 dst_sel:DWORD dst_unused:UNUSED_PAD src0_sel:BYTE_3 src1_sel:DWORD
	v_lshlrev_b32_e32 v13, 2, v43
	v_add3_u32 v80, 0, v12, v13
	v_sub_f32_e32 v12, v76, v91
	v_fma_f32 v13, v76, 2.0, -v12
	ds_write_b32 v80, v13
	ds_write_b32 v80, v12 offset:1920
	v_sub_f32_e32 v12, v72, v24
	v_fma_f32 v13, v72, 2.0, -v12
	v_lshl_add_u32 v72, v51, 2, 0
	ds_write_b32 v72, v13 offset:7680
	ds_write_b32 v72, v12 offset:9600
	v_sub_f32_e32 v12, v70, v25
	v_fma_f32 v13, v70, 2.0, -v12
	v_lshl_add_u32 v76, v83, 2, 0
	ds_write_b32 v76, v13 offset:7680
	;; [unrolled: 5-line block ×3, first 2 shown]
	ds_write_b32 v81, v12 offset:9600
	v_mul_u32_u24_sdwa v12, v29, s4 dst_sel:DWORD dst_unused:UNUSED_PAD src0_sel:BYTE_3 src1_sel:DWORD
	v_lshlrev_b32_e32 v13, 2, v93
	v_add3_u32 v83, 0, v12, v13
	v_sub_f32_e32 v12, v68, v23
	v_fma_f32 v13, v68, 2.0, -v12
	ds_write_b32 v83, v13
	ds_write_b32 v83, v12 offset:1920
	v_sub_f32_e32 v12, v66, v20
	v_fma_f32 v13, v66, 2.0, -v12
	v_lshl_add_u32 v87, v30, 2, 0
	ds_write_b32 v87, v13 offset:11520
	ds_write_b32 v87, v12 offset:13440
	v_sub_f32_e32 v12, v54, v21
	v_fma_f32 v13, v54, 2.0, -v12
	v_lshl_add_u32 v54, v101, 2, 0
	ds_write_b32 v54, v13 offset:11520
	ds_write_b32 v54, v12 offset:13440
	v_sub_f32_e32 v12, v38, v14
	v_fma_f32 v79, v16, 2.0, -v78
	v_fma_f32 v13, v38, 2.0, -v12
	v_lshl_add_u32 v88, v115, 2, 0
	ds_write_b32 v88, v13 offset:11520
	ds_write_b32 v88, v12 offset:13440
	s_waitcnt lgkmcnt(0)
	s_barrier
	ds_read_b32 v68, v111
	ds_read_b32 v69, v65
	;; [unrolled: 1-line block ×14, first 2 shown]
	ds_read2st64_b32 v[12:13], v110 offset1:30
	ds_read2st64_b32 v[28:29], v110 offset0:32 offset1:34
	ds_read2st64_b32 v[24:25], v110 offset0:36 offset1:38
	;; [unrolled: 1-line block ×7, first 2 shown]
	s_waitcnt lgkmcnt(0)
	s_barrier
	ds_write_b32 v110, v79
	ds_write_b32 v110, v78 offset:1920
	v_sub_f32_e32 v78, v63, v122
	v_fma_f32 v63, v63, 2.0, -v78
	ds_write_b32 v118, v63
	ds_write_b32 v118, v78 offset:1920
	v_sub_f32_e32 v63, v103, v86
	v_fma_f32 v78, v103, 2.0, -v63
	;; [unrolled: 4-line block ×3, first 2 shown]
	ds_write_b32 v2, v78
	ds_write_b32 v2, v63 offset:1920
	v_sub_f32_e32 v2, v109, v85
	v_sub_f32_e32 v26, v104, v26
	v_fma_f32 v63, v109, 2.0, -v2
	v_fma_f32 v78, v104, 2.0, -v26
	v_sub_f32_e32 v27, v105, v27
	ds_write2st64_b32 v55, v63, v78 offset0:15 offset1:17
	v_fma_f32 v55, v105, 2.0, -v27
	ds_write2_b32 v77, v55, v2 offset1:224
	ds_write2st64_b32 v1, v26, v27 offset0:25 offset1:27
	v_sub_f32_e32 v2, v106, v94
	v_fma_f32 v26, v106, 2.0, -v2
	ds_write_b32 v80, v26
	ds_write_b32 v80, v2 offset:1920
	v_sub_f32_e32 v2, v107, v95
	v_fma_f32 v26, v107, 2.0, -v2
	ds_write_b32 v72, v26 offset:7680
	ds_write_b32 v72, v2 offset:9600
	v_sub_f32_e32 v2, v108, v96
	v_fma_f32 v26, v108, 2.0, -v2
	ds_write_b32 v76, v26 offset:7680
	;; [unrolled: 4-line block ×3, first 2 shown]
	ds_write_b32 v81, v2 offset:9600
	v_sub_f32_e32 v2, v120, v98
	v_fma_f32 v26, v120, 2.0, -v2
	ds_write_b32 v83, v26
	ds_write_b32 v83, v2 offset:1920
	v_sub_f32_e32 v2, v121, v99
	v_fma_f32 v26, v121, 2.0, -v2
	v_sub_f32_e32 v27, v123, v102
	v_sub_f32_e32 v62, v125, v62
	v_fma_f32 v55, v123, 2.0, -v27
	v_fma_f32 v63, v125, 2.0, -v62
	ds_write_b32 v87, v26 offset:11520
	ds_write_b32 v87, v2 offset:13440
	;; [unrolled: 1-line block ×6, first 2 shown]
	v_add_co_u32_e64 v26, s[0:1], s5, v8
	v_lshl_add_u64 v[62:63], v[56:57], 3, s[8:9]
	s_nop 0
	v_addc_co_u32_e64 v27, s[0:1], 0, v9, s[0:1]
	v_add_co_u32_e64 v54, s[0:1], s5, v6
	s_waitcnt lgkmcnt(0)
	s_nop 0
	v_addc_co_u32_e64 v55, s[0:1], 0, v7, s[0:1]
	s_barrier
	global_load_dwordx2 v[76:77], v[54:55], off offset:3504
	global_load_dwordx2 v[78:79], v[26:27], off offset:3504
	;; [unrolled: 1-line block ×3, first 2 shown]
	v_add_co_u32_e64 v26, s[0:1], s5, v62
	v_lshl_add_u64 v[56:57], v[60:61], 3, s[8:9]
	s_nop 0
	v_addc_co_u32_e64 v27, s[0:1], 0, v63, s[0:1]
	v_add_co_u32_e64 v54, s[0:1], s5, v56
	v_add_u32_e32 v2, 0xfffffc40, v39
	s_nop 0
	v_addc_co_u32_e64 v55, s[0:1], 0, v57, s[0:1]
	global_load_dwordx2 v[60:61], v[26:27], off offset:3504
	global_load_dwordx2 v[84:85], v[54:55], off offset:3504
	v_lshl_add_u64 v[54:55], v[52:53], 3, s[8:9]
	v_add_co_u32_e64 v52, s[0:1], s5, v54
	v_lshl_add_u64 v[26:27], v[58:59], 3, s[8:9]
	s_nop 0
	v_addc_co_u32_e64 v53, s[0:1], 0, v55, s[0:1]
	v_add_co_u32_e64 v58, s[0:1], s5, v26
	v_add_u32_e32 v98, 0x2c0, v0
	s_nop 0
	v_addc_co_u32_e64 v59, s[0:1], 0, v27, s[0:1]
	v_cmp_gt_u32_e64 s[0:1], s10, v39
	global_load_dwordx2 v[86:87], v[52:53], off offset:3504
	global_load_dwordx2 v[88:89], v[58:59], off offset:3504
	v_cndmask_b32_e64 v2, v2, v39, s[0:1]
	v_lshl_add_u64 v[52:53], v[2:3], 3, s[8:9]
	v_add_co_u32_e64 v52, s[0:1], s5, v52
	v_mov_b32_e32 v99, v3
	s_nop 0
	v_addc_co_u32_e64 v53, s[0:1], 0, v53, s[0:1]
	global_load_dwordx2 v[52:53], v[52:53], off offset:3504
	s_movk_i32 s0, 0x2000
	v_add_co_u32_e64 v58, s[0:1], s0, v4
	v_lshl_add_u64 v[98:99], v[98:99], 3, s[8:9]
	s_nop 0
	v_addc_co_u32_e64 v59, s[0:1], 0, v5, s[0:1]
	global_load_dwordx2 v[90:91], v[58:59], off offset:944
	global_load_dwordx2 v[94:95], v[58:59], off offset:1968
	;; [unrolled: 1-line block ×3, first 2 shown]
	v_add_u32_e32 v58, 0x240, v0
	v_mov_b32_e32 v59, v3
	v_lshl_add_u64 v[58:59], v[58:59], 3, s[8:9]
	v_add_co_u32_e64 v58, s[0:1], s5, v58
	v_add_u32_e32 v102, 0x340, v0
	s_nop 0
	v_addc_co_u32_e64 v59, s[0:1], 0, v59, s[0:1]
	global_load_dwordx2 v[58:59], v[58:59], off offset:3504
	v_add_co_u32_e64 v98, s[0:1], s5, v98
	v_mov_b32_e32 v103, v3
	s_nop 0
	v_addc_co_u32_e64 v99, s[0:1], 0, v99, s[0:1]
	global_load_dwordx2 v[98:99], v[98:99], off offset:3504
	v_lshl_add_u64 v[102:103], v[102:103], 3, s[8:9]
	v_add_co_u32_e64 v102, s[0:1], s5, v102
	v_lshlrev_b32_e32 v2, 2, v2
	s_nop 0
	v_addc_co_u32_e64 v103, s[0:1], 0, v103, s[0:1]
	global_load_dwordx2 v[104:105], v[102:103], off offset:3504
	global_load_dwordx2 v[106:107], v[10:11], off offset:3504
	ds_read2st64_b32 v[10:11], v110 offset0:32 offset1:34
	s_movk_i32 s0, 0x3bf
	v_cmp_lt_u32_e64 s[0:1], s0, v39
	s_waitcnt vmcnt(14) lgkmcnt(0)
	v_mul_f32_e32 v83, v11, v77
	s_waitcnt vmcnt(13)
	v_mul_f32_e32 v72, v10, v79
	v_fmac_f32_e32 v72, v28, v78
	v_mul_f32_e32 v28, v28, v79
	v_fma_f32 v28, v10, v78, -v28
	ds_read2st64_b32 v[78:79], v110 offset0:36 offset1:38
	v_mul_f32_e32 v10, v29, v77
	v_fmac_f32_e32 v83, v29, v76
	v_fma_f32 v29, v11, v76, -v10
	s_waitcnt vmcnt(11)
	v_mul_f32_e32 v10, v24, v61
	s_waitcnt lgkmcnt(0)
	v_fma_f32 v102, v78, v60, -v10
	ds_read2st64_b32 v[10:11], v110 offset0:40 offset1:42
	v_mul_f32_e32 v76, v78, v61
	v_fmac_f32_e32 v76, v24, v60
	s_waitcnt vmcnt(10)
	v_mul_f32_e32 v60, v79, v85
	v_mul_f32_e32 v24, v25, v85
	v_fmac_f32_e32 v60, v25, v84
	v_fma_f32 v79, v79, v84, -v24
	ds_read2st64_b32 v[24:25], v110 offset0:44 offset1:46
	s_waitcnt vmcnt(9) lgkmcnt(1)
	v_mul_f32_e32 v61, v10, v87
	v_fmac_f32_e32 v61, v22, v86
	v_mul_f32_e32 v22, v22, v87
	v_fma_f32 v85, v10, v86, -v22
	s_waitcnt vmcnt(8)
	v_mul_f32_e32 v10, v23, v89
	v_fma_f32 v86, v11, v88, -v10
	v_mul_f32_e32 v22, v11, v89
	v_fmac_f32_e32 v22, v23, v88
	s_waitcnt vmcnt(7)
	v_mul_f32_e32 v10, v20, v53
	s_waitcnt lgkmcnt(0)
	v_fma_f32 v87, v24, v52, -v10
	ds_read2st64_b32 v[10:11], v110 offset0:48 offset1:50
	v_mul_f32_e32 v23, v24, v53
	v_fmac_f32_e32 v23, v20, v52
	v_mul_f32_e32 v24, v25, v81
	v_mul_f32_e32 v20, v21, v81
	v_fmac_f32_e32 v24, v21, v80
	v_fma_f32 v25, v25, v80, -v20
	ds_read2st64_b32 v[20:21], v110 offset0:52 offset1:54
	s_waitcnt vmcnt(6) lgkmcnt(1)
	v_mul_f32_e32 v52, v10, v91
	v_fmac_f32_e32 v52, v18, v90
	v_mul_f32_e32 v18, v18, v91
	v_fma_f32 v88, v10, v90, -v18
	s_waitcnt vmcnt(5)
	v_mul_f32_e32 v18, v11, v95
	v_mul_f32_e32 v10, v19, v95
	v_fmac_f32_e32 v18, v19, v94
	v_fma_f32 v19, v11, v94, -v10
	s_waitcnt vmcnt(4)
	v_mul_f32_e32 v10, v16, v97
	s_waitcnt lgkmcnt(0)
	v_fma_f32 v89, v20, v96, -v10
	ds_read2st64_b32 v[10:11], v110 offset0:56 offset1:58
	v_mul_f32_e32 v53, v20, v97
	v_fmac_f32_e32 v53, v16, v96
	s_waitcnt vmcnt(3)
	v_mul_f32_e32 v20, v21, v59
	v_mul_f32_e32 v16, v17, v59
	v_fmac_f32_e32 v20, v17, v58
	v_fma_f32 v21, v21, v58, -v16
	ds_read2st64_b32 v[16:17], v110 offset1:30
	s_waitcnt vmcnt(2) lgkmcnt(1)
	v_mul_f32_e32 v58, v10, v99
	v_fmac_f32_e32 v58, v14, v98
	v_mul_f32_e32 v14, v14, v99
	v_fma_f32 v59, v10, v98, -v14
	s_waitcnt vmcnt(1)
	v_mul_f32_e32 v14, v15, v105
	v_mul_f32_e32 v10, v11, v105
	v_fma_f32 v11, v11, v104, -v14
	s_waitcnt vmcnt(0) lgkmcnt(0)
	v_mul_f32_e32 v14, v17, v107
	v_fmac_f32_e32 v14, v13, v106
	v_sub_f32_e32 v14, v12, v14
	v_mul_f32_e32 v13, v13, v107
	v_fma_f32 v12, v12, 2.0, -v14
	v_fmac_f32_e32 v10, v15, v104
	v_fma_f32 v13, v17, v106, -v13
	ds_read_b32 v15, v111
	ds_read_b32 v90, v65
	;; [unrolled: 1-line block ×14, first 2 shown]
	s_waitcnt lgkmcnt(0)
	s_barrier
	ds_write2st64_b32 v110, v12, v14 offset1:15
	v_sub_f32_e32 v12, v115, v72
	v_fma_f32 v14, v115, 2.0, -v12
	ds_write2st64_b32 v118, v14, v12 offset1:15
	v_sub_f32_e32 v12, v101, v83
	v_fma_f32 v14, v101, 2.0, -v12
	;; [unrolled: 3-line block ×6, first 2 shown]
	ds_write2st64_b32 v65, v14, v12 offset1:15
	v_mov_b32_e32 v12, 0x1e00
	v_cndmask_b32_e64 v12, 0, v12, s[0:1]
	v_add3_u32 v2, 0, v12, v2
	v_sub_f32_e32 v12, v66, v23
	v_fma_f32 v14, v66, 2.0, -v12
	ds_write2st64_b32 v2, v14, v12 offset1:15
	v_sub_f32_e32 v12, v64, v24
	v_sub_f32_e32 v17, v51, v52
	v_fma_f32 v14, v64, 2.0, -v12
	v_fma_f32 v22, v51, 2.0, -v17
	v_sub_f32_e32 v51, v16, v13
	v_sub_f32_e32 v13, v38, v18
	ds_write2st64_b32 v1, v14, v22 offset0:31 offset1:33
	ds_write2st64_b32 v1, v17, v13 offset0:48 offset1:50
	v_sub_f32_e32 v14, v32, v53
	v_sub_f32_e32 v17, v33, v20
	;; [unrolled: 1-line block ×4, first 2 shown]
	v_fma_f32 v83, v16, 2.0, -v51
	v_fma_f32 v13, v38, 2.0, -v13
	;; [unrolled: 1-line block ×6, first 2 shown]
	ds_write2st64_b32 v1, v13, v16 offset0:35 offset1:37
	ds_write2st64_b32 v1, v14, v17 offset0:52 offset1:54
	;; [unrolled: 1-line block ×5, first 2 shown]
	s_waitcnt lgkmcnt(0)
	s_barrier
	ds_read2st64_b32 v[80:81], v110 offset1:30
	ds_read2st64_b32 v[76:77], v110 offset0:32 offset1:34
	ds_read2st64_b32 v[68:69], v110 offset0:36 offset1:38
	ds_read_b32 v66, v111
	ds_read2st64_b32 v[60:61], v110 offset0:40 offset1:42
	ds_read2st64_b32 v[52:53], v110 offset0:44 offset1:46
	ds_read_b32 v64, v65
	ds_read_b32 v58, v67
	;; [unrolled: 1-line block ×4, first 2 shown]
	ds_read2st64_b32 v[22:23], v110 offset0:48 offset1:50
	ds_read_b32 v70, v114
	ds_read_b32 v72, v113
	ds_read_b32 v24, v112
	ds_read2st64_b32 v[16:17], v110 offset0:52 offset1:54
	ds_read_b32 v20, v73
	ds_read_b32 v18, v74
	ds_read_b32 v14, v75
	;; [unrolled: 4-line block ×3, first 2 shown]
	v_sub_f32_e32 v28, v106, v28
	v_fma_f32 v32, v106, 2.0, -v28
	s_waitcnt lgkmcnt(0)
	s_barrier
	ds_write2st64_b32 v110, v83, v51 offset1:15
	ds_write2st64_b32 v118, v32, v28 offset1:15
	v_sub_f32_e32 v28, v105, v29
	v_fma_f32 v29, v105, 2.0, -v28
	ds_write2st64_b32 v49, v29, v28 offset1:15
	v_sub_f32_e32 v28, v97, v102
	v_fma_f32 v29, v97, 2.0, -v28
	;; [unrolled: 3-line block ×6, first 2 shown]
	ds_write2st64_b32 v2, v28, v15 offset1:15
	v_sub_f32_e32 v2, v94, v25
	v_sub_f32_e32 v25, v95, v88
	v_fma_f32 v15, v94, 2.0, -v2
	v_fma_f32 v28, v95, 2.0, -v25
	ds_write2st64_b32 v1, v15, v28 offset0:31 offset1:33
	v_sub_f32_e32 v15, v98, v19
	v_sub_f32_e32 v19, v99, v89
	ds_write2st64_b32 v1, v25, v15 offset0:48 offset1:50
	v_fma_f32 v15, v98, 2.0, -v15
	v_fma_f32 v25, v99, 2.0, -v19
	ds_write2st64_b32 v1, v15, v25 offset0:35 offset1:37
	v_sub_f32_e32 v15, v103, v21
	ds_write2st64_b32 v1, v19, v15 offset0:52 offset1:54
	v_sub_f32_e32 v19, v104, v59
	v_fma_f32 v15, v103, 2.0, -v15
	v_fma_f32 v21, v104, 2.0, -v19
	v_sub_f32_e32 v11, v107, v11
	ds_write2st64_b32 v1, v15, v21 offset0:39 offset1:41
	v_fma_f32 v15, v107, 2.0, -v11
	ds_write2st64_b32 v1, v15, v2 offset0:43 offset1:46
	ds_write2st64_b32 v1, v19, v11 offset0:56 offset1:58
	s_waitcnt lgkmcnt(0)
	s_barrier
	s_and_saveexec_b64 s[0:1], vcc
	s_cbranch_execz .LBB0_15
; %bb.14:
	v_mad_u64_u32 v[88:89], s[0:1], s2, v36, 0
	s_movk_i32 s0, 0x3000
	s_nop 0
	v_add_co_u32_e32 v4, vcc, s0, v4
	v_mul_lo_u32 v2, s3, v36
	s_nop 0
	v_addc_co_u32_e32 v5, vcc, 0, v5, vcc
	global_load_dwordx2 v[90:91], v[4:5], off offset:2992
	v_mul_lo_u32 v15, s2, v37
	v_mul_i32_i24_e32 v11, 0xffffffdc, v50
	v_add3_u32 v89, v89, v15, v2
	v_mov_b32_e32 v2, v41
	v_add_co_u32_e32 v8, vcc, s0, v8
	v_mul_i32_i24_e32 v1, 0xffffffdc, v42
	v_lshl_add_u64 v[36:37], v[2:3], 3, s[8:9]
	v_add_u32_e32 v2, v100, v11
	v_addc_co_u32_e32 v9, vcc, 0, v9, vcc
	ds_read2st64_b32 v[4:5], v110 offset0:56 offset1:58
	ds_read2st64_b32 v[28:29], v110 offset0:52 offset1:54
	v_add_u32_e32 v1, v92, v1
	ds_read_b32 v79, v2
	ds_read_b32 v85, v1
	;; [unrolled: 1-line block ×6, first 2 shown]
	global_load_dwordx2 v[92:93], v[8:9], off offset:2992
	v_mov_b32_e32 v49, v3
	v_mov_b32_e32 v2, v47
	v_add_co_u32_e32 v6, vcc, s0, v6
	v_lshl_add_u64 v[32:33], v[48:49], 3, s[8:9]
	v_lshl_add_u64 v[48:49], v[2:3], 3, s[8:9]
	v_mov_b32_e32 v2, v45
	v_mov_b32_e32 v45, v3
	v_addc_co_u32_e32 v7, vcc, 0, v7, vcc
	ds_read2st64_b32 v[42:43], v110 offset0:48 offset1:50
	v_lshl_add_u64 v[50:51], v[2:3], 3, s[8:9]
	v_lshl_add_u64 v[74:75], v[44:45], 3, s[8:9]
	ds_read2st64_b32 v[44:45], v110 offset0:44 offset1:46
	v_mov_b32_e32 v2, v39
	ds_read2st64_b32 v[8:9], v110 offset0:40 offset1:42
	ds_read_b32 v31, v31
	ds_read_b32 v39, v71
	;; [unrolled: 1-line block ×8, first 2 shown]
	ds_read2st64_b32 v[86:87], v110 offset0:36 offset1:38
	ds_read2st64_b32 v[94:95], v110 offset0:32 offset1:34
	ds_read2st64_b32 v[96:97], v110 offset1:30
	global_load_dwordx2 v[6:7], v[6:7], off offset:2992
	v_add_co_u32_e32 v62, vcc, s0, v62
	s_mov_b32 s1, 0x88888889
	s_nop 0
	v_addc_co_u32_e32 v63, vcc, 0, v63, vcc
	global_load_dwordx2 v[62:63], v[62:63], off offset:2992
	v_mul_hi_u32 v1, v0, s1
	v_lshrrev_b32_e32 v1, 10, v1
	v_mul_u32_u24_e32 v1, 0x780, v1
	v_sub_u32_e32 v1, v0, v1
	v_mad_u64_u32 v[98:99], s[2:3], s16, v1, 0
	v_lshl_add_u64 v[82:83], v[2:3], 3, s[8:9]
	v_mov_b32_e32 v2, v99
	v_mov_b32_e32 v41, v3
	;; [unrolled: 1-line block ×3, first 2 shown]
	v_mad_u64_u32 v[2:3], s[2:3], s17, v1, v[2:3]
	v_mov_b32_e32 v99, v2
	v_lshl_add_u64 v[2:3], v[88:89], 3, s[6:7]
	v_add_u32_e32 v1, 0x780, v1
	v_lshl_add_u64 v[2:3], v[34:35], 3, v[2:3]
	v_mad_u64_u32 v[88:89], s[2:3], s16, v1, 0
	v_lshl_add_u64 v[34:35], v[98:99], 3, v[2:3]
	v_mov_b32_e32 v98, v89
	v_mad_u64_u32 v[98:99], s[2:3], s17, v1, v[98:99]
	s_waitcnt lgkmcnt(0)
	v_mov_b32_e32 v100, v97
	v_mov_b32_e32 v89, v98
	;; [unrolled: 1-line block ×5, first 2 shown]
	v_add_u32_e32 v1, 0x80, v0
	v_lshl_add_u64 v[88:89], v[88:89], 3, v[2:3]
	v_add_co_u32_e32 v56, vcc, s0, v56
	v_lshl_add_u64 v[46:47], v[46:47], 3, s[8:9]
	s_nop 0
	v_addc_co_u32_e32 v57, vcc, 0, v57, vcc
	v_lshl_add_u64 v[40:41], v[40:41], 3, s[8:9]
	s_waitcnt vmcnt(3)
	v_pk_mul_f32 v[100:101], v[90:91], v[100:101] op_sel_hi:[1,0]
	s_nop 0
	v_pk_fma_f32 v[98:99], v[98:99], v[90:91], v[100:101] op_sel:[0,0,1] op_sel_hi:[1,1,0]
	v_pk_fma_f32 v[90:91], v[102:103], v[90:91], v[100:101] op_sel:[0,0,1] op_sel_hi:[0,1,0] neg_lo:[1,0,0] neg_hi:[1,0,0]
	v_mov_b32_e32 v99, v91
	v_pk_add_f32 v[90:91], v[80:81], v[98:99] neg_lo:[0,1] neg_hi:[0,1]
	s_nop 0
	v_pk_fma_f32 v[80:81], v[80:81], 2.0, v[90:91] op_sel_hi:[1,0,1] neg_lo:[0,0,1] neg_hi:[0,0,1]
	global_store_dwordx2 v[34:35], v[80:81], off
	global_store_dwordx2 v[88:89], v[90:91], off
	v_mul_hi_u32 v34, v1, s1
	v_lshrrev_b32_e32 v34, 10, v34
	v_mul_u32_u24_e32 v35, 0x780, v34
	v_sub_u32_e32 v1, v1, v35
	v_mad_u32_u24 v1, v34, s4, v1
	v_mad_u64_u32 v[34:35], s[2:3], s16, v1, 0
	v_mov_b32_e32 v80, v35
	v_mad_u64_u32 v[80:81], s[2:3], s17, v1, v[80:81]
	v_add_u32_e32 v1, 0x780, v1
	v_mov_b32_e32 v35, v80
	v_mad_u64_u32 v[80:81], s[2:3], s16, v1, 0
	v_mov_b32_e32 v88, v81
	v_mad_u64_u32 v[88:89], s[2:3], s17, v1, v[88:89]
	v_mov_b32_e32 v81, v88
	s_waitcnt vmcnt(4)
	v_pk_mul_f32 v[88:89], v[92:93], v[94:95] op_sel_hi:[1,0]
	v_lshl_add_u64 v[34:35], v[34:35], 3, v[2:3]
	v_pk_fma_f32 v[90:91], v[76:77], v[92:93], v[88:89] op_sel:[0,0,1] op_sel_hi:[1,1,0]
	v_pk_fma_f32 v[88:89], v[76:77], v[92:93], v[88:89] op_sel:[0,0,1] op_sel_hi:[0,1,0] neg_lo:[1,0,0] neg_hi:[1,0,0]
	v_mov_b32_e32 v91, v89
	v_pk_add_f32 v[88:89], v[84:85], v[90:91] neg_lo:[0,1] neg_hi:[0,1]
	v_add_u32_e32 v1, 0x100, v0
	v_pk_fma_f32 v[84:85], v[84:85], 2.0, v[88:89] op_sel_hi:[1,0,1] neg_lo:[0,0,1] neg_hi:[0,0,1]
	v_lshl_add_u64 v[80:81], v[80:81], 3, v[2:3]
	global_store_dwordx2 v[34:35], v[84:85], off
	global_store_dwordx2 v[80:81], v[88:89], off
	v_mul_hi_u32 v34, v1, s1
	v_lshrrev_b32_e32 v34, 10, v34
	v_mul_u32_u24_e32 v35, 0x780, v34
	v_sub_u32_e32 v1, v1, v35
	v_mad_u32_u24 v1, v34, s4, v1
	v_mad_u64_u32 v[34:35], s[2:3], s16, v1, 0
	v_mov_b32_e32 v76, v35
	v_mad_u64_u32 v[80:81], s[2:3], s17, v1, v[76:77]
	v_add_u32_e32 v1, 0x780, v1
	v_mov_b32_e32 v35, v80
	v_mad_u64_u32 v[80:81], s[2:3], s16, v1, 0
	v_mov_b32_e32 v76, v81
	v_mad_u64_u32 v[84:85], s[2:3], s17, v1, v[76:77]
	v_mov_b32_e32 v81, v84
	global_load_dwordx2 v[56:57], v[56:57], off offset:2992
	v_mov_b32_e32 v84, v95
	v_mov_b32_e32 v76, v77
	s_waitcnt vmcnt(6)
	v_pk_mul_f32 v[84:85], v[6:7], v[84:85] op_sel_hi:[1,0]
	v_lshl_add_u64 v[34:35], v[34:35], 3, v[2:3]
	v_pk_fma_f32 v[88:89], v[76:77], v[6:7], v[84:85] op_sel:[0,0,1] op_sel_hi:[1,1,0]
	v_pk_fma_f32 v[6:7], v[76:77], v[6:7], v[84:85] op_sel:[0,0,1] op_sel_hi:[0,1,0] neg_lo:[1,0,0] neg_hi:[1,0,0]
	v_mov_b32_e32 v89, v7
	v_pk_add_f32 v[6:7], v[78:79], v[88:89] neg_lo:[0,1] neg_hi:[0,1]
	v_add_u32_e32 v1, 0x180, v0
	v_pk_fma_f32 v[76:77], v[78:79], 2.0, v[6:7] op_sel_hi:[1,0,1] neg_lo:[0,0,1] neg_hi:[0,0,1]
	v_lshl_add_u64 v[80:81], v[80:81], 3, v[2:3]
	global_store_dwordx2 v[34:35], v[76:77], off
	global_store_dwordx2 v[80:81], v[6:7], off
	v_mul_hi_u32 v6, v1, s1
	v_lshrrev_b32_e32 v6, 10, v6
	v_mul_u32_u24_e32 v7, 0x780, v6
	v_sub_u32_e32 v1, v1, v7
	v_mad_u32_u24 v1, v6, s4, v1
	v_mad_u64_u32 v[6:7], s[2:3], s16, v1, 0
	v_mov_b32_e32 v34, v7
	v_mad_u64_u32 v[34:35], s[2:3], s17, v1, v[34:35]
	v_mov_b32_e32 v7, v34
	v_add_co_u32_e32 v34, vcc, s0, v54
	v_add_u32_e32 v1, 0x780, v1
	s_nop 0
	v_addc_co_u32_e32 v35, vcc, 0, v55, vcc
	global_load_dwordx2 v[34:35], v[34:35], off offset:2992
	v_mad_u64_u32 v[54:55], s[2:3], s16, v1, 0
	v_mov_b32_e32 v76, v55
	v_mad_u64_u32 v[76:77], s[2:3], s17, v1, v[76:77]
	v_mov_b32_e32 v55, v76
	s_waitcnt vmcnt(8)
	v_pk_mul_f32 v[76:77], v[62:63], v[86:87] op_sel_hi:[1,0]
	v_lshl_add_u64 v[6:7], v[6:7], 3, v[2:3]
	v_pk_fma_f32 v[78:79], v[68:69], v[62:63], v[76:77] op_sel:[0,0,1] op_sel_hi:[1,1,0]
	v_pk_fma_f32 v[62:63], v[68:69], v[62:63], v[76:77] op_sel:[0,0,1] op_sel_hi:[0,1,0] neg_lo:[1,0,0] neg_hi:[1,0,0]
	v_mov_b32_e32 v79, v63
	v_pk_add_f32 v[62:63], v[72:73], v[78:79] neg_lo:[0,1] neg_hi:[0,1]
	v_add_co_u32_e32 v26, vcc, s0, v26
	v_pk_fma_f32 v[72:73], v[72:73], 2.0, v[62:63] op_sel_hi:[1,0,1] neg_lo:[0,0,1] neg_hi:[0,0,1]
	v_lshl_add_u64 v[54:55], v[54:55], 3, v[2:3]
	global_store_dwordx2 v[6:7], v[72:73], off
	global_store_dwordx2 v[54:55], v[62:63], off
	v_addc_co_u32_e32 v27, vcc, 0, v27, vcc
	global_load_dwordx2 v[26:27], v[26:27], off offset:2992
	v_add_co_u32_e32 v72, vcc, s0, v82
	v_add_u32_e32 v1, 0x200, v0
	s_nop 0
	v_addc_co_u32_e32 v73, vcc, 0, v83, vcc
	global_load_dwordx2 v[72:73], v[72:73], off offset:2992
	v_mul_hi_u32 v6, v1, s1
	v_lshrrev_b32_e32 v6, 10, v6
	v_mul_u32_u24_e32 v7, 0x780, v6
	v_sub_u32_e32 v1, v1, v7
	v_mad_u32_u24 v1, v6, s4, v1
	v_mad_u64_u32 v[6:7], s[2:3], s16, v1, 0
	v_mov_b32_e32 v54, v7
	v_mad_u64_u32 v[54:55], s[2:3], s17, v1, v[54:55]
	v_add_u32_e32 v1, 0x780, v1
	v_mov_b32_e32 v7, v54
	v_mad_u64_u32 v[54:55], s[2:3], s16, v1, 0
	v_mov_b32_e32 v62, v55
	v_mad_u64_u32 v[62:63], s[2:3], s17, v1, v[62:63]
	v_mov_b32_e32 v68, v87
	v_mov_b32_e32 v55, v62
	;; [unrolled: 1-line block ×3, first 2 shown]
	v_lshl_add_u64 v[6:7], v[6:7], 3, v[2:3]
	v_add_u32_e32 v1, 0x280, v0
	v_lshl_add_u64 v[54:55], v[54:55], 3, v[2:3]
	s_waitcnt vmcnt(7)
	v_pk_mul_f32 v[76:77], v[56:57], v[68:69] op_sel_hi:[1,0]
	v_mov_b32_e32 v68, v69
	v_pk_fma_f32 v[62:63], v[62:63], v[56:57], v[76:77] op_sel:[0,0,1] op_sel_hi:[1,1,0]
	v_pk_fma_f32 v[56:57], v[68:69], v[56:57], v[76:77] op_sel:[0,0,1] op_sel_hi:[0,1,0] neg_lo:[1,0,0] neg_hi:[1,0,0]
	v_mov_b32_e32 v63, v57
	v_pk_add_f32 v[56:57], v[70:71], v[62:63] neg_lo:[0,1] neg_hi:[0,1]
	s_nop 0
	v_pk_fma_f32 v[62:63], v[70:71], 2.0, v[56:57] op_sel_hi:[1,0,1] neg_lo:[0,0,1] neg_hi:[0,0,1]
	global_store_dwordx2 v[6:7], v[62:63], off
	global_store_dwordx2 v[54:55], v[56:57], off
	v_mul_hi_u32 v6, v1, s1
	v_lshrrev_b32_e32 v6, 10, v6
	v_mul_u32_u24_e32 v7, 0x780, v6
	v_sub_u32_e32 v1, v1, v7
	v_mad_u32_u24 v1, v6, s4, v1
	v_mad_u64_u32 v[6:7], s[2:3], s16, v1, 0
	v_mov_b32_e32 v54, v7
	v_mad_u64_u32 v[54:55], s[2:3], s17, v1, v[54:55]
	v_add_u32_e32 v1, 0x780, v1
	v_mov_b32_e32 v7, v54
	v_mad_u64_u32 v[54:55], s[2:3], s16, v1, 0
	v_mov_b32_e32 v56, v55
	v_mad_u64_u32 v[56:57], s[2:3], s17, v1, v[56:57]
	v_mov_b32_e32 v55, v56
	v_lshl_add_u64 v[6:7], v[6:7], 3, v[2:3]
	v_add_u32_e32 v1, 0x300, v0
	s_waitcnt vmcnt(6)
	v_pk_mul_f32 v[56:57], v[34:35], v[8:9] op_sel_hi:[1,0]
	v_lshl_add_u64 v[54:55], v[54:55], 3, v[2:3]
	v_pk_fma_f32 v[62:63], v[60:61], v[34:35], v[56:57] op_sel:[0,0,1] op_sel_hi:[1,1,0]
	v_pk_fma_f32 v[34:35], v[60:61], v[34:35], v[56:57] op_sel:[0,0,1] op_sel_hi:[0,1,0] neg_lo:[1,0,0] neg_hi:[1,0,0]
	v_mov_b32_e32 v63, v35
	v_pk_add_f32 v[34:35], v[66:67], v[62:63] neg_lo:[0,1] neg_hi:[0,1]
	v_mov_b32_e32 v60, v61
	v_pk_fma_f32 v[56:57], v[66:67], 2.0, v[34:35] op_sel_hi:[1,0,1] neg_lo:[0,0,1] neg_hi:[0,0,1]
	global_store_dwordx2 v[6:7], v[56:57], off
	global_store_dwordx2 v[54:55], v[34:35], off
	v_mul_hi_u32 v6, v1, s1
	v_lshrrev_b32_e32 v6, 10, v6
	v_mul_u32_u24_e32 v7, 0x780, v6
	v_sub_u32_e32 v1, v1, v7
	v_mad_u32_u24 v1, v6, s4, v1
	v_mad_u64_u32 v[6:7], s[2:3], s16, v1, 0
	v_mov_b32_e32 v8, v7
	v_mad_u64_u32 v[34:35], s[2:3], s17, v1, v[8:9]
	v_add_u32_e32 v1, 0x780, v1
	v_mov_b32_e32 v7, v34
	v_mad_u64_u32 v[34:35], s[2:3], s16, v1, 0
	v_mov_b32_e32 v8, v35
	v_mad_u64_u32 v[54:55], s[2:3], s17, v1, v[8:9]
	v_mov_b32_e32 v35, v54
	v_add_co_u32_e32 v54, vcc, s0, v74
	v_mov_b32_e32 v56, v9
	s_nop 0
	v_addc_co_u32_e32 v55, vcc, 0, v75, vcc
	global_load_dwordx2 v[54:55], v[54:55], off offset:2992
	v_mov_b32_e32 v8, v61
	s_waitcnt vmcnt(6)
	v_pk_mul_f32 v[56:57], v[26:27], v[56:57] op_sel_hi:[1,0]
	v_lshl_add_u64 v[6:7], v[6:7], 3, v[2:3]
	v_pk_fma_f32 v[8:9], v[8:9], v[26:27], v[56:57] op_sel:[0,0,1] op_sel_hi:[1,1,0]
	v_pk_fma_f32 v[26:27], v[60:61], v[26:27], v[56:57] op_sel:[0,0,1] op_sel_hi:[0,1,0] neg_lo:[1,0,0] neg_hi:[1,0,0]
	v_mov_b32_e32 v9, v27
	v_pk_add_f32 v[8:9], v[64:65], v[8:9] neg_lo:[0,1] neg_hi:[0,1]
	v_add_u32_e32 v1, 0x380, v0
	v_pk_fma_f32 v[26:27], v[64:65], 2.0, v[8:9] op_sel_hi:[1,0,1] neg_lo:[0,0,1] neg_hi:[0,0,1]
	v_lshl_add_u64 v[34:35], v[34:35], 3, v[2:3]
	global_store_dwordx2 v[6:7], v[26:27], off
	global_store_dwordx2 v[34:35], v[8:9], off
	v_mul_hi_u32 v6, v1, s1
	v_lshrrev_b32_e32 v6, 10, v6
	v_mul_u32_u24_e32 v7, 0x780, v6
	v_sub_u32_e32 v1, v1, v7
	v_mad_u32_u24 v1, v6, s4, v1
	v_mad_u64_u32 v[6:7], s[2:3], s16, v1, 0
	v_mov_b32_e32 v8, v7
	v_mad_u64_u32 v[8:9], s[2:3], s17, v1, v[8:9]
	v_mov_b32_e32 v7, v8
	v_add_co_u32_e32 v8, vcc, s0, v50
	v_add_u32_e32 v1, 0x780, v1
	s_nop 0
	v_addc_co_u32_e32 v9, vcc, 0, v51, vcc
	v_mad_u64_u32 v[26:27], s[2:3], s16, v1, 0
	global_load_dwordx2 v[8:9], v[8:9], off offset:2992
	v_mov_b32_e32 v34, v27
	v_mad_u64_u32 v[34:35], s[2:3], s17, v1, v[34:35]
	v_mov_b32_e32 v27, v34
	s_waitcnt vmcnt(8)
	v_pk_mul_f32 v[34:35], v[72:73], v[44:45] op_sel_hi:[1,0]
	v_lshl_add_u64 v[6:7], v[6:7], 3, v[2:3]
	v_pk_fma_f32 v[50:51], v[52:53], v[72:73], v[34:35] op_sel:[0,0,1] op_sel_hi:[1,1,0]
	v_pk_fma_f32 v[34:35], v[52:53], v[72:73], v[34:35] op_sel:[0,0,1] op_sel_hi:[0,1,0] neg_lo:[1,0,0] neg_hi:[1,0,0]
	v_mov_b32_e32 v51, v35
	v_pk_add_f32 v[34:35], v[58:59], v[50:51] neg_lo:[0,1] neg_hi:[0,1]
	v_add_u32_e32 v1, 0x400, v0
	v_pk_fma_f32 v[50:51], v[58:59], 2.0, v[34:35] op_sel_hi:[1,0,1] neg_lo:[0,0,1] neg_hi:[0,0,1]
	v_lshl_add_u64 v[26:27], v[26:27], 3, v[2:3]
	global_store_dwordx2 v[6:7], v[50:51], off
	global_store_dwordx2 v[26:27], v[34:35], off
	v_mul_hi_u32 v6, v1, s1
	v_lshrrev_b32_e32 v6, 10, v6
	v_mul_u32_u24_e32 v7, 0x780, v6
	v_sub_u32_e32 v1, v1, v7
	v_mad_u32_u24 v1, v6, s4, v1
	v_mad_u64_u32 v[6:7], s[2:3], s16, v1, 0
	v_mov_b32_e32 v26, v7
	v_mad_u64_u32 v[26:27], s[2:3], s17, v1, v[26:27]
	v_mov_b32_e32 v7, v26
	v_add_co_u32_e32 v26, vcc, s0, v46
	v_add_u32_e32 v1, 0x780, v1
	s_nop 0
	v_addc_co_u32_e32 v27, vcc, 0, v47, vcc
	global_load_dwordx2 v[26:27], v[26:27], off offset:2992
	v_add_co_u32_e32 v48, vcc, s0, v48
	v_mad_u64_u32 v[34:35], s[2:3], s16, v1, 0
	s_nop 0
	v_addc_co_u32_e32 v49, vcc, 0, v49, vcc
	global_load_dwordx2 v[48:49], v[48:49], off offset:2992
	v_mov_b32_e32 v44, v35
	v_mad_u64_u32 v[46:47], s[2:3], s17, v1, v[44:45]
	v_mov_b32_e32 v35, v46
	v_mov_b32_e32 v46, v45
	;; [unrolled: 1-line block ×4, first 2 shown]
	v_lshl_add_u64 v[6:7], v[6:7], 3, v[2:3]
	v_add_u32_e32 v1, 0x480, v0
	v_lshl_add_u64 v[34:35], v[34:35], 3, v[2:3]
	s_waitcnt vmcnt(7)
	v_pk_mul_f32 v[46:47], v[54:55], v[46:47] op_sel_hi:[1,0]
	s_nop 0
	v_pk_fma_f32 v[44:45], v[44:45], v[54:55], v[46:47] op_sel:[0,0,1] op_sel_hi:[1,1,0]
	v_pk_fma_f32 v[46:47], v[50:51], v[54:55], v[46:47] op_sel:[0,0,1] op_sel_hi:[0,1,0] neg_lo:[1,0,0] neg_hi:[1,0,0]
	v_mov_b32_e32 v45, v47
	v_pk_add_f32 v[44:45], v[38:39], v[44:45] neg_lo:[0,1] neg_hi:[0,1]
	s_nop 0
	v_pk_fma_f32 v[38:39], v[38:39], 2.0, v[44:45] op_sel_hi:[1,0,1] neg_lo:[0,0,1] neg_hi:[0,0,1]
	global_store_dwordx2 v[6:7], v[38:39], off
	global_store_dwordx2 v[34:35], v[44:45], off
	v_mul_hi_u32 v6, v1, s1
	v_lshrrev_b32_e32 v6, 10, v6
	v_mul_u32_u24_e32 v7, 0x780, v6
	v_sub_u32_e32 v1, v1, v7
	v_mad_u32_u24 v1, v6, s4, v1
	v_mad_u64_u32 v[6:7], s[2:3], s16, v1, 0
	v_mov_b32_e32 v34, v7
	v_mad_u64_u32 v[34:35], s[2:3], s17, v1, v[34:35]
	v_add_u32_e32 v1, 0x780, v1
	v_mov_b32_e32 v7, v34
	v_mad_u64_u32 v[34:35], s[2:3], s16, v1, 0
	v_mov_b32_e32 v38, v35
	v_mad_u64_u32 v[38:39], s[2:3], s17, v1, v[38:39]
	v_mov_b32_e32 v35, v38
	v_lshl_add_u64 v[6:7], v[6:7], 3, v[2:3]
	v_add_u32_e32 v1, 0x500, v0
	v_lshl_add_u64 v[34:35], v[34:35], 3, v[2:3]
	s_waitcnt vmcnt(6)
	v_pk_mul_f32 v[38:39], v[8:9], v[42:43] op_sel_hi:[1,0]
	s_nop 0
	v_pk_fma_f32 v[44:45], v[22:23], v[8:9], v[38:39] op_sel:[0,0,1] op_sel_hi:[1,1,0]
	v_pk_fma_f32 v[8:9], v[22:23], v[8:9], v[38:39] op_sel:[0,0,1] op_sel_hi:[0,1,0] neg_lo:[1,0,0] neg_hi:[1,0,0]
	v_mov_b32_e32 v45, v9
	v_pk_add_f32 v[8:9], v[30:31], v[44:45] neg_lo:[0,1] neg_hi:[0,1]
	s_nop 0
	v_pk_fma_f32 v[30:31], v[30:31], 2.0, v[8:9] op_sel_hi:[1,0,1] neg_lo:[0,0,1] neg_hi:[0,0,1]
	global_store_dwordx2 v[6:7], v[30:31], off
	global_store_dwordx2 v[34:35], v[8:9], off
	v_mul_hi_u32 v6, v1, s1
	v_lshrrev_b32_e32 v6, 10, v6
	v_mul_u32_u24_e32 v7, 0x780, v6
	v_sub_u32_e32 v1, v1, v7
	v_mad_u32_u24 v1, v6, s4, v1
	v_mad_u64_u32 v[6:7], s[2:3], s16, v1, 0
	v_mov_b32_e32 v8, v7
	v_mad_u64_u32 v[8:9], s[2:3], s17, v1, v[8:9]
	v_add_u32_e32 v1, 0x780, v1
	v_mov_b32_e32 v7, v8
	v_add_co_u32_e32 v8, vcc, s0, v40
	v_mad_u64_u32 v[30:31], s[2:3], s16, v1, 0
	s_nop 0
	v_addc_co_u32_e32 v9, vcc, 0, v41, vcc
	v_mov_b32_e32 v22, v31
	global_load_dwordx2 v[8:9], v[8:9], off offset:2992
	v_mad_u64_u32 v[34:35], s[2:3], s17, v1, v[22:23]
	v_mov_b32_e32 v31, v34
	v_mov_b32_e32 v34, v43
	;; [unrolled: 1-line block ×3, first 2 shown]
	s_waitcnt vmcnt(6)
	v_pk_mul_f32 v[34:35], v[26:27], v[34:35] op_sel_hi:[1,0]
	v_lshl_add_u64 v[6:7], v[6:7], 3, v[2:3]
	v_pk_fma_f32 v[38:39], v[22:23], v[26:27], v[34:35] op_sel:[0,0,1] op_sel_hi:[1,1,0]
	v_pk_fma_f32 v[22:23], v[22:23], v[26:27], v[34:35] op_sel:[0,0,1] op_sel_hi:[0,1,0] neg_lo:[1,0,0] neg_hi:[1,0,0]
	v_mov_b32_e32 v39, v23
	v_pk_add_f32 v[22:23], v[24:25], v[38:39] neg_lo:[0,1] neg_hi:[0,1]
	v_add_u32_e32 v1, 0x580, v0
	v_pk_fma_f32 v[24:25], v[24:25], 2.0, v[22:23] op_sel_hi:[1,0,1] neg_lo:[0,0,1] neg_hi:[0,0,1]
	v_lshl_add_u64 v[30:31], v[30:31], 3, v[2:3]
	global_store_dwordx2 v[6:7], v[24:25], off
	global_store_dwordx2 v[30:31], v[22:23], off
	v_mul_hi_u32 v6, v1, s1
	v_lshrrev_b32_e32 v6, 10, v6
	v_mul_u32_u24_e32 v7, 0x780, v6
	v_sub_u32_e32 v1, v1, v7
	v_mad_u32_u24 v1, v6, s4, v1
	v_mad_u64_u32 v[6:7], s[2:3], s16, v1, 0
	v_mov_b32_e32 v24, v7
	v_mad_u64_u32 v[24:25], s[2:3], s17, v1, v[24:25]
	v_add_u32_e32 v1, 0x780, v1
	v_add_co_u32_e32 v22, vcc, s0, v36
	v_mov_b32_e32 v7, v24
	v_mad_u64_u32 v[24:25], s[2:3], s16, v1, 0
	v_addc_co_u32_e32 v23, vcc, 0, v37, vcc
	v_mov_b32_e32 v26, v25
	global_load_dwordx2 v[22:23], v[22:23], off offset:2992
	v_mad_u64_u32 v[26:27], s[2:3], s17, v1, v[26:27]
	v_mov_b32_e32 v25, v26
	s_waitcnt vmcnt(8)
	v_pk_mul_f32 v[26:27], v[48:49], v[28:29] op_sel_hi:[1,0]
	v_lshl_add_u64 v[6:7], v[6:7], 3, v[2:3]
	v_pk_fma_f32 v[30:31], v[16:17], v[48:49], v[26:27] op_sel:[0,0,1] op_sel_hi:[1,1,0]
	v_pk_fma_f32 v[26:27], v[16:17], v[48:49], v[26:27] op_sel:[0,0,1] op_sel_hi:[0,1,0] neg_lo:[1,0,0] neg_hi:[1,0,0]
	v_mov_b32_e32 v31, v27
	v_pk_add_f32 v[26:27], v[20:21], v[30:31] neg_lo:[0,1] neg_hi:[0,1]
	v_add_u32_e32 v1, 0x600, v0
	v_pk_fma_f32 v[20:21], v[20:21], 2.0, v[26:27] op_sel_hi:[1,0,1] neg_lo:[0,0,1] neg_hi:[0,0,1]
	v_lshl_add_u64 v[24:25], v[24:25], 3, v[2:3]
	global_store_dwordx2 v[6:7], v[20:21], off
	global_store_dwordx2 v[24:25], v[26:27], off
	v_mul_hi_u32 v6, v1, s1
	v_lshrrev_b32_e32 v16, 10, v6
	v_mul_u32_u24_e32 v6, 0x780, v16
	v_sub_u32_e32 v1, v1, v6
	v_add_co_u32_e32 v6, vcc, s0, v32
	v_mad_u32_u24 v1, v16, s4, v1
	s_nop 0
	v_addc_co_u32_e32 v7, vcc, 0, v33, vcc
	global_load_dwordx2 v[6:7], v[6:7], off offset:2992
	v_mad_u64_u32 v[20:21], s[2:3], s16, v1, 0
	v_mov_b32_e32 v16, v21
	v_mad_u64_u32 v[24:25], s[2:3], s17, v1, v[16:17]
	v_add_u32_e32 v1, 0x780, v1
	v_mov_b32_e32 v21, v24
	v_mad_u64_u32 v[24:25], s[2:3], s16, v1, 0
	v_mov_b32_e32 v16, v25
	v_mad_u64_u32 v[26:27], s[2:3], s17, v1, v[16:17]
	v_mov_b32_e32 v25, v26
	v_mov_b32_e32 v26, v29
	;; [unrolled: 1-line block ×3, first 2 shown]
	v_lshl_add_u64 v[20:21], v[20:21], 3, v[2:3]
	v_add_u32_e32 v1, 0x680, v0
	v_lshl_add_u64 v[24:25], v[24:25], 3, v[2:3]
	v_add_u32_e32 v0, 0x700, v0
	s_waitcnt vmcnt(6)
	v_pk_mul_f32 v[26:27], v[8:9], v[26:27] op_sel_hi:[1,0]
	s_nop 0
	v_pk_fma_f32 v[28:29], v[16:17], v[8:9], v[26:27] op_sel:[0,0,1] op_sel_hi:[1,1,0]
	v_pk_fma_f32 v[8:9], v[16:17], v[8:9], v[26:27] op_sel:[0,0,1] op_sel_hi:[0,1,0] neg_lo:[1,0,0] neg_hi:[1,0,0]
	v_mov_b32_e32 v29, v9
	v_pk_add_f32 v[8:9], v[18:19], v[28:29] neg_lo:[0,1] neg_hi:[0,1]
	s_nop 0
	v_pk_fma_f32 v[16:17], v[18:19], 2.0, v[8:9] op_sel_hi:[1,0,1] neg_lo:[0,0,1] neg_hi:[0,0,1]
	global_store_dwordx2 v[20:21], v[16:17], off
	global_store_dwordx2 v[24:25], v[8:9], off
	v_mul_hi_u32 v8, v1, s1
	v_lshrrev_b32_e32 v8, 10, v8
	v_mul_u32_u24_e32 v9, 0x780, v8
	v_sub_u32_e32 v1, v1, v9
	v_mad_u32_u24 v1, v8, s4, v1
	v_mad_u64_u32 v[8:9], s[2:3], s16, v1, 0
	v_mov_b32_e32 v16, v9
	v_mad_u64_u32 v[16:17], s[2:3], s17, v1, v[16:17]
	v_add_u32_e32 v1, 0x780, v1
	v_mov_b32_e32 v9, v16
	v_mad_u64_u32 v[16:17], s[2:3], s16, v1, 0
	v_mov_b32_e32 v18, v17
	v_mad_u64_u32 v[18:19], s[2:3], s17, v1, v[18:19]
	v_mul_hi_u32 v1, v0, s1
	v_lshrrev_b32_e32 v1, 10, v1
	v_mov_b32_e32 v17, v18
	v_lshl_add_u64 v[8:9], v[8:9], 3, v[2:3]
	v_lshl_add_u64 v[16:17], v[16:17], 3, v[2:3]
	s_waitcnt vmcnt(5)
	v_pk_mul_f32 v[18:19], v[22:23], v[4:5] op_sel_hi:[1,0]
	v_mul_u32_u24_e32 v4, 0x780, v1
	v_pk_fma_f32 v[20:21], v[12:13], v[22:23], v[18:19] op_sel:[0,0,1] op_sel_hi:[1,1,0]
	v_pk_fma_f32 v[18:19], v[12:13], v[22:23], v[18:19] op_sel:[0,0,1] op_sel_hi:[0,1,0] neg_lo:[1,0,0] neg_hi:[1,0,0]
	v_sub_u32_e32 v0, v0, v4
	v_mov_b32_e32 v21, v19
	v_mad_u32_u24 v12, v1, s4, v0
	v_pk_add_f32 v[18:19], v[14:15], v[20:21] neg_lo:[0,1] neg_hi:[0,1]
	v_mad_u64_u32 v[0:1], s[0:1], s16, v12, 0
	v_pk_fma_f32 v[14:15], v[14:15], 2.0, v[18:19] op_sel_hi:[1,0,1] neg_lo:[0,0,1] neg_hi:[0,0,1]
	v_mov_b32_e32 v4, v1
	global_store_dwordx2 v[8:9], v[14:15], off
	global_store_dwordx2 v[16:17], v[18:19], off
	v_mad_u64_u32 v[8:9], s[0:1], s17, v12, v[4:5]
	v_add_u32_e32 v12, 0x780, v12
	v_mov_b32_e32 v1, v8
	v_mad_u64_u32 v[8:9], s[0:1], s16, v12, 0
	v_mov_b32_e32 v4, v9
	v_mad_u64_u32 v[14:15], s[0:1], s17, v12, v[4:5]
	v_mov_b32_e32 v9, v14
	v_lshl_add_u64 v[0:1], v[0:1], 3, v[2:3]
	v_lshl_add_u64 v[2:3], v[8:9], 3, v[2:3]
	v_mov_b32_e32 v8, v5
	v_mov_b32_e32 v4, v13
	s_waitcnt vmcnt(4)
	v_pk_mul_f32 v[8:9], v[6:7], v[8:9] op_sel_hi:[1,0]
	v_mov_b32_e32 v12, v13
	v_pk_fma_f32 v[4:5], v[4:5], v[6:7], v[8:9] op_sel:[0,0,1] op_sel_hi:[1,1,0]
	v_pk_fma_f32 v[6:7], v[12:13], v[6:7], v[8:9] op_sel:[0,0,1] op_sel_hi:[0,1,0] neg_lo:[1,0,0] neg_hi:[1,0,0]
	v_mov_b32_e32 v5, v7
	v_pk_add_f32 v[4:5], v[10:11], v[4:5] neg_lo:[0,1] neg_hi:[0,1]
	s_nop 0
	v_pk_fma_f32 v[6:7], v[10:11], 2.0, v[4:5] op_sel_hi:[1,0,1] neg_lo:[0,0,1] neg_hi:[0,0,1]
	global_store_dwordx2 v[0:1], v[6:7], off
	global_store_dwordx2 v[2:3], v[4:5], off
.LBB0_15:
	s_endpgm
	.section	.rodata,"a",@progbits
	.p2align	6, 0x0
	.amdhsa_kernel fft_rtc_back_len3840_factors_10_6_2_2_2_2_2_2_wgs_128_tpt_128_halfLds_sp_op_CI_CI_sbrr_dirReg
		.amdhsa_group_segment_fixed_size 0
		.amdhsa_private_segment_fixed_size 0
		.amdhsa_kernarg_size 104
		.amdhsa_user_sgpr_count 2
		.amdhsa_user_sgpr_dispatch_ptr 0
		.amdhsa_user_sgpr_queue_ptr 0
		.amdhsa_user_sgpr_kernarg_segment_ptr 1
		.amdhsa_user_sgpr_dispatch_id 0
		.amdhsa_user_sgpr_kernarg_preload_length 0
		.amdhsa_user_sgpr_kernarg_preload_offset 0
		.amdhsa_user_sgpr_private_segment_size 0
		.amdhsa_uses_dynamic_stack 0
		.amdhsa_enable_private_segment 0
		.amdhsa_system_sgpr_workgroup_id_x 1
		.amdhsa_system_sgpr_workgroup_id_y 0
		.amdhsa_system_sgpr_workgroup_id_z 0
		.amdhsa_system_sgpr_workgroup_info 0
		.amdhsa_system_vgpr_workitem_id 0
		.amdhsa_next_free_vgpr 172
		.amdhsa_next_free_sgpr 32
		.amdhsa_accum_offset 172
		.amdhsa_reserve_vcc 1
		.amdhsa_float_round_mode_32 0
		.amdhsa_float_round_mode_16_64 0
		.amdhsa_float_denorm_mode_32 3
		.amdhsa_float_denorm_mode_16_64 3
		.amdhsa_dx10_clamp 1
		.amdhsa_ieee_mode 1
		.amdhsa_fp16_overflow 0
		.amdhsa_tg_split 0
		.amdhsa_exception_fp_ieee_invalid_op 0
		.amdhsa_exception_fp_denorm_src 0
		.amdhsa_exception_fp_ieee_div_zero 0
		.amdhsa_exception_fp_ieee_overflow 0
		.amdhsa_exception_fp_ieee_underflow 0
		.amdhsa_exception_fp_ieee_inexact 0
		.amdhsa_exception_int_div_zero 0
	.end_amdhsa_kernel
	.text
.Lfunc_end0:
	.size	fft_rtc_back_len3840_factors_10_6_2_2_2_2_2_2_wgs_128_tpt_128_halfLds_sp_op_CI_CI_sbrr_dirReg, .Lfunc_end0-fft_rtc_back_len3840_factors_10_6_2_2_2_2_2_2_wgs_128_tpt_128_halfLds_sp_op_CI_CI_sbrr_dirReg
                                        ; -- End function
	.section	.AMDGPU.csdata,"",@progbits
; Kernel info:
; codeLenInByte = 23404
; NumSgprs: 38
; NumVgprs: 172
; NumAgprs: 0
; TotalNumVgprs: 172
; ScratchSize: 0
; MemoryBound: 0
; FloatMode: 240
; IeeeMode: 1
; LDSByteSize: 0 bytes/workgroup (compile time only)
; SGPRBlocks: 4
; VGPRBlocks: 21
; NumSGPRsForWavesPerEU: 38
; NumVGPRsForWavesPerEU: 172
; AccumOffset: 172
; Occupancy: 2
; WaveLimiterHint : 1
; COMPUTE_PGM_RSRC2:SCRATCH_EN: 0
; COMPUTE_PGM_RSRC2:USER_SGPR: 2
; COMPUTE_PGM_RSRC2:TRAP_HANDLER: 0
; COMPUTE_PGM_RSRC2:TGID_X_EN: 1
; COMPUTE_PGM_RSRC2:TGID_Y_EN: 0
; COMPUTE_PGM_RSRC2:TGID_Z_EN: 0
; COMPUTE_PGM_RSRC2:TIDIG_COMP_CNT: 0
; COMPUTE_PGM_RSRC3_GFX90A:ACCUM_OFFSET: 42
; COMPUTE_PGM_RSRC3_GFX90A:TG_SPLIT: 0
	.text
	.p2alignl 6, 3212836864
	.fill 256, 4, 3212836864
	.type	__hip_cuid_dcf9d495a812475b,@object ; @__hip_cuid_dcf9d495a812475b
	.section	.bss,"aw",@nobits
	.globl	__hip_cuid_dcf9d495a812475b
__hip_cuid_dcf9d495a812475b:
	.byte	0                               ; 0x0
	.size	__hip_cuid_dcf9d495a812475b, 1

	.ident	"AMD clang version 19.0.0git (https://github.com/RadeonOpenCompute/llvm-project roc-6.4.0 25133 c7fe45cf4b819c5991fe208aaa96edf142730f1d)"
	.section	".note.GNU-stack","",@progbits
	.addrsig
	.addrsig_sym __hip_cuid_dcf9d495a812475b
	.amdgpu_metadata
---
amdhsa.kernels:
  - .agpr_count:     0
    .args:
      - .actual_access:  read_only
        .address_space:  global
        .offset:         0
        .size:           8
        .value_kind:     global_buffer
      - .offset:         8
        .size:           8
        .value_kind:     by_value
      - .actual_access:  read_only
        .address_space:  global
        .offset:         16
        .size:           8
        .value_kind:     global_buffer
      - .actual_access:  read_only
        .address_space:  global
        .offset:         24
        .size:           8
        .value_kind:     global_buffer
      - .actual_access:  read_only
        .address_space:  global
        .offset:         32
        .size:           8
        .value_kind:     global_buffer
      - .offset:         40
        .size:           8
        .value_kind:     by_value
      - .actual_access:  read_only
        .address_space:  global
        .offset:         48
        .size:           8
        .value_kind:     global_buffer
      - .actual_access:  read_only
        .address_space:  global
        .offset:         56
        .size:           8
        .value_kind:     global_buffer
      - .offset:         64
        .size:           4
        .value_kind:     by_value
      - .actual_access:  read_only
        .address_space:  global
        .offset:         72
        .size:           8
        .value_kind:     global_buffer
      - .actual_access:  read_only
        .address_space:  global
        .offset:         80
        .size:           8
        .value_kind:     global_buffer
      - .actual_access:  read_only
        .address_space:  global
        .offset:         88
        .size:           8
        .value_kind:     global_buffer
      - .actual_access:  write_only
        .address_space:  global
        .offset:         96
        .size:           8
        .value_kind:     global_buffer
    .group_segment_fixed_size: 0
    .kernarg_segment_align: 8
    .kernarg_segment_size: 104
    .language:       OpenCL C
    .language_version:
      - 2
      - 0
    .max_flat_workgroup_size: 128
    .name:           fft_rtc_back_len3840_factors_10_6_2_2_2_2_2_2_wgs_128_tpt_128_halfLds_sp_op_CI_CI_sbrr_dirReg
    .private_segment_fixed_size: 0
    .sgpr_count:     38
    .sgpr_spill_count: 0
    .symbol:         fft_rtc_back_len3840_factors_10_6_2_2_2_2_2_2_wgs_128_tpt_128_halfLds_sp_op_CI_CI_sbrr_dirReg.kd
    .uniform_work_group_size: 1
    .uses_dynamic_stack: false
    .vgpr_count:     172
    .vgpr_spill_count: 0
    .wavefront_size: 64
amdhsa.target:   amdgcn-amd-amdhsa--gfx950
amdhsa.version:
  - 1
  - 2
...

	.end_amdgpu_metadata
